;; amdgpu-corpus repo=ROCm/rocFFT kind=compiled arch=gfx906 opt=O3
	.text
	.amdgcn_target "amdgcn-amd-amdhsa--gfx906"
	.amdhsa_code_object_version 6
	.protected	bluestein_single_fwd_len686_dim1_dp_op_CI_CI ; -- Begin function bluestein_single_fwd_len686_dim1_dp_op_CI_CI
	.globl	bluestein_single_fwd_len686_dim1_dp_op_CI_CI
	.p2align	8
	.type	bluestein_single_fwd_len686_dim1_dp_op_CI_CI,@function
bluestein_single_fwd_len686_dim1_dp_op_CI_CI: ; @bluestein_single_fwd_len686_dim1_dp_op_CI_CI
; %bb.0:
	s_load_dwordx4 s[16:19], s[4:5], 0x28
	v_mul_u32_u24_e32 v1, 0x53a, v0
	v_add_u32_sdwa v156, s6, v1 dst_sel:DWORD dst_unused:UNUSED_PAD src0_sel:DWORD src1_sel:WORD_1
	v_mov_b32_e32 v157, 0
	s_waitcnt lgkmcnt(0)
	v_cmp_gt_u64_e32 vcc, s[16:17], v[156:157]
	s_and_saveexec_b64 s[0:1], vcc
	s_cbranch_execz .LBB0_2
; %bb.1:
	s_load_dwordx4 s[0:3], s[4:5], 0x18
	s_load_dwordx4 s[8:11], s[4:5], 0x0
	v_mov_b32_e32 v2, 49
	v_mul_lo_u16_sdwa v1, v1, v2 dst_sel:DWORD dst_unused:UNUSED_PAD src0_sel:WORD_1 src1_sel:DWORD
	v_sub_u16_e32 v160, v0, v1
	s_waitcnt lgkmcnt(0)
	s_load_dwordx4 s[12:15], s[0:1], 0x0
	v_lshlrev_b32_e32 v159, 4, v160
	s_movk_i32 s30, 0x1000
	v_mov_b32_e32 v161, 0xffffde50
	s_movk_i32 s31, 0x2000
	s_waitcnt lgkmcnt(0)
	v_mad_u64_u32 v[0:1], s[0:1], s14, v156, 0
	v_mad_u64_u32 v[2:3], s[0:1], s12, v160, 0
	s_mov_b32 s25, 0xbfe11646
	s_mov_b32 s24, 0xe976ee23
	v_mad_u64_u32 v[4:5], s[0:1], s15, v156, v[1:2]
	s_mov_b32 s26, 0xaaaaaaaa
	s_mov_b32 s28, 0x5476071b
	v_mad_u64_u32 v[5:6], s[0:1], s13, v160, v[3:4]
	v_mov_b32_e32 v1, v4
	v_lshlrev_b64 v[0:1], 4, v[0:1]
	v_mov_b32_e32 v6, s19
	v_mov_b32_e32 v3, v5
	v_add_co_u32_e32 v4, vcc, s18, v0
	v_addc_co_u32_e32 v5, vcc, v6, v1, vcc
	v_lshlrev_b64 v[0:1], 4, v[2:3]
	v_mov_b32_e32 v2, s9
	v_add_co_u32_e32 v0, vcc, v4, v0
	v_addc_co_u32_e32 v1, vcc, v5, v1, vcc
	v_add_co_u32_e32 v162, vcc, s8, v159
	s_mul_i32 s0, s13, 0x620
	s_mul_hi_u32 s1, s12, 0x620
	v_addc_co_u32_e32 v163, vcc, 0, v2, vcc
	s_add_i32 s0, s1, s0
	s_mul_i32 s1, s12, 0x620
	global_load_dwordx4 v[56:59], v[0:1], off
	v_mov_b32_e32 v2, s0
	v_add_co_u32_e32 v0, vcc, s1, v0
	v_addc_co_u32_e32 v1, vcc, v1, v2, vcc
	v_mov_b32_e32 v3, s0
	v_add_co_u32_e32 v2, vcc, s1, v0
	v_addc_co_u32_e32 v3, vcc, v1, v3, vcc
	global_load_dwordx4 v[60:63], v[0:1], off
	global_load_dwordx4 v[64:67], v[2:3], off
	v_mov_b32_e32 v1, s0
	v_add_co_u32_e32 v0, vcc, s1, v2
	v_addc_co_u32_e32 v1, vcc, v3, v1, vcc
	v_add_co_u32_e32 v40, vcc, s30, v162
	v_addc_co_u32_e32 v41, vcc, 0, v163, vcc
	global_load_dwordx4 v[68:71], v[0:1], off
	v_mov_b32_e32 v2, s0
	v_add_co_u32_e32 v0, vcc, s1, v0
	v_addc_co_u32_e32 v1, vcc, v1, v2, vcc
	global_load_dwordx4 v[72:75], v[0:1], off
	v_add_co_u32_e32 v42, vcc, s1, v0
	v_addc_co_u32_e32 v43, vcc, v1, v2, vcc
	global_load_dwordx4 v[0:3], v[40:41], off offset:3744
	global_load_dwordx4 v[76:79], v[42:43], off
	global_load_dwordx4 v[36:39], v159, s[8:9]
	global_load_dwordx4 v[4:7], v159, s[8:9] offset:784
	global_load_dwordx4 v[32:35], v159, s[8:9] offset:1568
	;; [unrolled: 1-line block ×5, first 2 shown]
	global_load_dwordx4 v[24:27], v[40:41], off offset:608
	global_load_dwordx4 v[20:23], v[40:41], off offset:1392
	global_load_dwordx4 v[52:55], v[40:41], off offset:2176
	global_load_dwordx4 v[16:19], v[40:41], off offset:2960
	v_mov_b32_e32 v41, s0
	v_add_co_u32_e32 v40, vcc, s1, v42
	v_addc_co_u32_e32 v41, vcc, v43, v41, vcc
	v_mad_u64_u32 v[44:45], s[6:7], s12, v161, v[40:41]
	s_mul_i32 s6, s13, 0xffffde50
	v_add_co_u32_e32 v157, vcc, s31, v162
	s_sub_i32 s6, s6, s12
	v_addc_co_u32_e32 v158, vcc, 0, v163, vcc
	v_add_u32_e32 v45, s6, v45
	global_load_dwordx4 v[84:87], v[44:45], off
	v_mov_b32_e32 v46, s0
	v_add_co_u32_e32 v44, vcc, s1, v44
	v_addc_co_u32_e32 v45, vcc, v45, v46, vcc
	global_load_dwordx4 v[80:83], v[40:41], off
	global_load_dwordx4 v[88:91], v[44:45], off
	v_add_co_u32_e32 v44, vcc, s1, v44
	global_load_dwordx4 v[40:43], v[157:158], off offset:1216
	v_addc_co_u32_e32 v45, vcc, v45, v46, vcc
	global_load_dwordx4 v[92:95], v[44:45], off
	v_add_co_u32_e32 v44, vcc, s1, v44
	v_addc_co_u32_e32 v45, vcc, v45, v46, vcc
	global_load_dwordx4 v[96:99], v[44:45], off
	v_add_co_u32_e32 v44, vcc, s1, v44
	;; [unrolled: 3-line block ×4, first 2 shown]
	v_addc_co_u32_e32 v113, vcc, v45, v46, vcc
	global_load_dwordx4 v[44:47], v[157:158], off offset:432
	global_load_dwordx4 v[108:111], v[112:113], off
	global_load_dwordx4 v[48:51], v[157:158], off offset:2000
	s_load_dwordx4 s[0:3], s[2:3], 0x0
	s_mov_b32 s6, 0x36b3c0b5
	s_mov_b32 s7, 0x3fac98ee
	;; [unrolled: 1-line block ×18, first 2 shown]
	s_movk_i32 s33, 0x60
	s_load_dwordx2 s[4:5], s[4:5], 0x38
	s_waitcnt vmcnt(20)
	v_mul_f64 v[112:113], v[58:59], v[38:39]
	v_mul_f64 v[114:115], v[56:57], v[38:39]
	s_waitcnt vmcnt(18)
	v_mul_f64 v[116:117], v[62:63], v[34:35]
	v_mul_f64 v[118:119], v[60:61], v[34:35]
	;; [unrolled: 3-line block ×5, first 2 shown]
	v_mul_f64 v[132:133], v[78:79], v[2:3]
	v_mul_f64 v[134:135], v[76:77], v[2:3]
	v_fma_f64 v[56:57], v[56:57], v[36:37], v[112:113]
	v_fma_f64 v[58:59], v[58:59], v[36:37], -v[114:115]
	v_fma_f64 v[60:61], v[60:61], v[32:33], v[116:117]
	v_fma_f64 v[62:63], v[62:63], v[32:33], -v[118:119]
	;; [unrolled: 2-line block ×6, first 2 shown]
	ds_write_b128 v159, v[56:59]
	ds_write_b128 v159, v[60:63] offset:1568
	ds_write_b128 v159, v[64:67] offset:3136
	;; [unrolled: 1-line block ×5, first 2 shown]
	s_waitcnt vmcnt(10)
	v_mul_f64 v[60:61], v[86:87], v[6:7]
	v_mul_f64 v[62:63], v[84:85], v[6:7]
	s_waitcnt vmcnt(8)
	v_mul_f64 v[64:65], v[90:91], v[10:11]
	v_mul_f64 v[66:67], v[88:89], v[10:11]
	;; [unrolled: 3-line block ×3, first 2 shown]
	v_fma_f64 v[60:61], v[84:85], v[4:5], v[60:61]
	s_waitcnt vmcnt(6)
	v_mul_f64 v[68:69], v[94:95], v[14:15]
	v_mul_f64 v[70:71], v[92:93], v[14:15]
	v_fma_f64 v[62:63], v[86:87], v[4:5], -v[62:63]
	v_fma_f64 v[64:65], v[88:89], v[8:9], v[64:65]
	v_fma_f64 v[66:67], v[90:91], v[8:9], -v[66:67]
	s_waitcnt vmcnt(5)
	v_mul_f64 v[72:73], v[98:99], v[22:23]
	v_mul_f64 v[74:75], v[96:97], v[22:23]
	v_fma_f64 v[56:57], v[80:81], v[40:41], v[56:57]
	v_fma_f64 v[58:59], v[82:83], v[40:41], -v[58:59]
	v_fma_f64 v[68:69], v[92:93], v[12:13], v[68:69]
	s_waitcnt vmcnt(4)
	v_mul_f64 v[76:77], v[102:103], v[18:19]
	v_mul_f64 v[78:79], v[100:101], v[18:19]
	v_fma_f64 v[70:71], v[94:95], v[12:13], -v[70:71]
	v_fma_f64 v[72:73], v[96:97], v[20:21], v[72:73]
	v_fma_f64 v[74:75], v[98:99], v[20:21], -v[74:75]
	s_waitcnt vmcnt(2)
	v_mul_f64 v[80:81], v[106:107], v[46:47]
	v_mul_f64 v[82:83], v[104:105], v[46:47]
	s_waitcnt vmcnt(0)
	v_mul_f64 v[84:85], v[110:111], v[50:51]
	v_mul_f64 v[86:87], v[108:109], v[50:51]
	v_fma_f64 v[76:77], v[100:101], v[16:17], v[76:77]
	v_fma_f64 v[78:79], v[102:103], v[16:17], -v[78:79]
	v_fma_f64 v[80:81], v[104:105], v[44:45], v[80:81]
	v_fma_f64 v[82:83], v[106:107], v[44:45], -v[82:83]
	;; [unrolled: 2-line block ×3, first 2 shown]
	ds_write_b128 v159, v[56:59] offset:9408
	ds_write_b128 v159, v[60:63] offset:784
	;; [unrolled: 1-line block ×8, first 2 shown]
	s_waitcnt lgkmcnt(0)
	; wave barrier
	s_waitcnt lgkmcnt(0)
	ds_read_b128 v[56:59], v159 offset:9408
	ds_read_b128 v[60:63], v159 offset:1568
	;; [unrolled: 1-line block ×10, first 2 shown]
	s_waitcnt lgkmcnt(8)
	v_add_f64 v[96:97], v[60:61], v[56:57]
	v_add_f64 v[98:99], v[62:63], v[58:59]
	s_waitcnt lgkmcnt(2)
	v_add_f64 v[100:101], v[68:69], v[84:85]
	v_add_f64 v[102:103], v[60:61], -v[56:57]
	v_add_f64 v[104:105], v[62:63], -v[58:59]
	ds_read_b128 v[56:59], v159 offset:6272
	ds_read_b128 v[60:63], v159 offset:7056
	v_add_f64 v[106:107], v[70:71], v[86:87]
	v_add_f64 v[68:69], v[68:69], -v[84:85]
	v_add_f64 v[70:71], v[70:71], -v[86:87]
	s_waitcnt lgkmcnt(1)
	v_add_f64 v[84:85], v[76:77], v[56:57]
	v_add_f64 v[86:87], v[78:79], v[58:59]
	v_add_f64 v[76:77], v[56:57], -v[76:77]
	v_add_f64 v[78:79], v[58:59], -v[78:79]
	v_add_f64 v[56:57], v[100:101], v[96:97]
	v_add_f64 v[58:59], v[106:107], v[98:99]
	v_add_f64 v[112:113], v[72:73], v[88:89]
	v_add_f64 v[114:115], v[74:75], v[90:91]
	v_add_f64 v[88:89], v[72:73], -v[88:89]
	v_add_f64 v[90:91], v[74:75], -v[90:91]
	;; [unrolled: 1-line block ×4, first 2 shown]
	v_add_f64 v[116:117], v[84:85], v[56:57]
	v_add_f64 v[74:75], v[76:77], v[68:69]
	v_add_f64 v[128:129], v[76:77], -v[68:69]
	v_add_f64 v[130:131], v[78:79], -v[70:71]
	v_add_f64 v[118:119], v[86:87], v[58:59]
	ds_read_b128 v[56:59], v159
	v_add_f64 v[108:109], v[64:65], v[92:93]
	v_add_f64 v[110:111], v[66:67], v[94:95]
	v_add_f64 v[92:93], v[64:65], -v[92:93]
	v_add_f64 v[94:95], v[66:67], -v[94:95]
	ds_read_b128 v[64:67], v159 offset:784
	s_waitcnt lgkmcnt(1)
	v_add_f64 v[56:57], v[56:57], v[116:117]
	v_add_f64 v[124:125], v[78:79], v[70:71]
	v_add_f64 v[126:127], v[106:107], -v[98:99]
	v_add_f64 v[106:107], v[86:87], -v[106:107]
	;; [unrolled: 1-line block ×4, first 2 shown]
	v_add_f64 v[132:133], v[74:75], v[102:103]
	v_mul_f64 v[74:75], v[100:101], s[6:7]
	v_mul_f64 v[128:129], v[128:129], s[24:25]
	;; [unrolled: 1-line block ×3, first 2 shown]
	v_add_f64 v[84:85], v[96:97], -v[84:85]
	v_add_f64 v[86:87], v[98:99], -v[86:87]
	v_add_f64 v[58:59], v[58:59], v[118:119]
	v_add_f64 v[124:125], v[124:125], v[104:105]
	v_mul_f64 v[134:135], v[106:107], s[6:7]
	v_fma_f64 v[116:117], v[116:117], s[26:27], v[56:57]
	v_fma_f64 v[74:75], v[72:73], s[28:29], -v[74:75]
	v_fma_f64 v[96:97], v[70:71], s[14:15], -v[130:131]
	;; [unrolled: 1-line block ×3, first 2 shown]
	v_mul_f64 v[84:85], v[84:85], s[18:19]
	v_mul_f64 v[86:87], v[86:87], s[18:19]
	v_add_f64 v[76:77], v[102:103], -v[76:77]
	v_add_f64 v[78:79], v[104:105], -v[78:79]
	v_mul_f64 v[68:69], v[68:69], s[22:23]
	v_mul_f64 v[70:71], v[70:71], s[22:23]
	v_fma_f64 v[118:119], v[118:119], s[26:27], v[58:59]
	v_fma_f64 v[134:135], v[126:127], s[28:29], -v[134:135]
	v_add_f64 v[74:75], v[74:75], v[116:117]
	v_fma_f64 v[72:73], v[72:73], s[16:17], -v[84:85]
	v_fma_f64 v[102:103], v[126:127], s[16:17], -v[86:87]
	v_fma_f64 v[96:97], v[124:125], s[8:9], v[96:97]
	v_fma_f64 v[68:69], v[76:77], s[12:13], v[68:69]
	;; [unrolled: 1-line block ×3, first 2 shown]
	v_add_f64 v[120:121], v[80:81], v[60:61]
	v_add_f64 v[122:123], v[82:83], v[62:63]
	;; [unrolled: 1-line block ×3, first 2 shown]
	v_fma_f64 v[98:99], v[132:133], s[8:9], v[98:99]
	v_add_f64 v[104:105], v[60:61], -v[80:81]
	v_add_f64 v[126:127], v[62:63], -v[82:83]
	v_add_f64 v[80:81], v[72:73], v[116:117]
	v_add_f64 v[82:83], v[102:103], v[118:119]
	v_fma_f64 v[102:103], v[124:125], s[8:9], v[70:71]
	v_fma_f64 v[136:137], v[132:133], s[8:9], v[68:69]
	v_add_f64 v[60:61], v[74:75], -v[96:97]
	v_add_f64 v[68:69], v[74:75], v[96:97]
	v_add_f64 v[96:97], v[112:113], v[108:109]
	v_fma_f64 v[84:85], v[100:101], s[6:7], v[84:85]
	v_fma_f64 v[86:87], v[106:107], s[6:7], v[86:87]
	;; [unrolled: 1-line block ×3, first 2 shown]
	v_add_f64 v[62:63], v[98:99], v[134:135]
	v_add_f64 v[70:71], v[134:135], -v[98:99]
	v_add_f64 v[98:99], v[114:115], v[110:111]
	v_add_f64 v[72:73], v[80:81], v[102:103]
	v_add_f64 v[74:75], v[82:83], -v[136:137]
	v_fma_f64 v[100:101], v[78:79], s[20:21], v[130:131]
	v_add_f64 v[96:97], v[120:121], v[96:97]
	v_add_f64 v[76:77], v[80:81], -v[102:103]
	v_add_f64 v[78:79], v[136:137], v[82:83]
	v_add_f64 v[84:85], v[84:85], v[116:117]
	;; [unrolled: 1-line block ×3, first 2 shown]
	v_fma_f64 v[102:103], v[132:133], s[8:9], v[106:107]
	v_add_f64 v[106:107], v[120:121], -v[112:113]
	v_add_f64 v[116:117], v[122:123], -v[114:115]
	;; [unrolled: 1-line block ×6, first 2 shown]
	v_add_f64 v[118:119], v[126:127], v[90:91]
	v_add_f64 v[90:91], v[90:91], -v[94:95]
	v_add_f64 v[130:131], v[104:105], v[88:89]
	v_add_f64 v[88:89], v[88:89], -v[92:93]
	v_add_f64 v[108:109], v[108:109], -v[120:121]
	;; [unrolled: 1-line block ×3, first 2 shown]
	v_add_f64 v[98:99], v[122:123], v[98:99]
	v_fma_f64 v[100:101], v[124:125], s[8:9], v[100:101]
	s_waitcnt lgkmcnt(0)
	v_add_f64 v[64:65], v[64:65], v[96:97]
	v_mul_f64 v[124:125], v[106:107], s[6:7]
	v_mul_f64 v[132:133], v[80:81], s[24:25]
	v_add_f64 v[130:131], v[130:131], v[92:93]
	v_add_f64 v[118:119], v[118:119], v[94:95]
	v_add_f64 v[92:93], v[92:93], -v[104:105]
	v_add_f64 v[94:95], v[94:95], -v[126:127]
	v_mul_f64 v[104:105], v[108:109], s[18:19]
	v_mul_f64 v[108:109], v[110:111], s[18:19]
	;; [unrolled: 1-line block ×4, first 2 shown]
	v_add_f64 v[66:67], v[66:67], v[98:99]
	v_mul_f64 v[134:135], v[82:83], s[24:25]
	v_fma_f64 v[96:97], v[96:97], s[26:27], v[64:65]
	v_fma_f64 v[124:125], v[112:113], s[28:29], -v[124:125]
	v_add_f64 v[80:81], v[84:85], v[100:101]
	v_add_f64 v[84:85], v[84:85], -v[100:101]
	v_fma_f64 v[100:101], v[112:113], s[16:17], -v[104:105]
	v_fma_f64 v[110:111], v[94:95], s[12:13], v[110:111]
	v_fma_f64 v[112:113], v[92:93], s[12:13], v[126:127]
	;; [unrolled: 1-line block ×4, first 2 shown]
	v_mul_f64 v[128:129], v[116:117], s[6:7]
	v_fma_f64 v[98:99], v[98:99], s[26:27], v[66:67]
	v_fma_f64 v[136:137], v[90:91], s[14:15], -v[132:133]
	v_add_f64 v[82:83], v[86:87], -v[102:103]
	v_add_f64 v[86:87], v[102:103], v[86:87]
	v_fma_f64 v[102:103], v[114:115], s[16:17], -v[108:109]
	v_fma_f64 v[106:107], v[116:117], s[6:7], v[108:109]
	v_fma_f64 v[92:93], v[92:93], s[20:21], v[134:135]
	v_add_f64 v[100:101], v[100:101], v[96:97]
	v_fma_f64 v[108:109], v[118:119], s[8:9], v[110:111]
	v_fma_f64 v[110:111], v[130:131], s[8:9], v[112:113]
	v_add_f64 v[112:113], v[104:105], v[96:97]
	v_fma_f64 v[116:117], v[118:119], s[8:9], v[94:95]
	v_fma_f64 v[128:129], v[114:115], s[28:29], -v[128:129]
	v_fma_f64 v[138:139], v[88:89], s[14:15], -v[134:135]
	v_add_f64 v[120:121], v[124:125], v[96:97]
	v_fma_f64 v[124:125], v[118:119], s[8:9], v[136:137]
	v_add_f64 v[114:115], v[106:107], v[98:99]
	v_fma_f64 v[118:119], v[130:131], s[8:9], v[92:93]
	v_add_f64 v[96:97], v[100:101], v[108:109]
	v_add_f64 v[100:101], v[100:101], -v[108:109]
	v_add_f64 v[104:105], v[112:113], v[116:117]
	v_add_f64 v[108:109], v[112:113], -v[116:117]
	v_mul_lo_u16_e32 v112, 7, v160
	v_add_f64 v[102:103], v[102:103], v[98:99]
	v_lshlrev_b32_e32 v164, 4, v112
	v_add_f64 v[122:123], v[128:129], v[98:99]
	v_fma_f64 v[128:129], v[130:131], s[8:9], v[138:139]
	s_waitcnt lgkmcnt(0)
	; wave barrier
	ds_write_b128 v164, v[56:59]
	ds_write_b128 v164, v[80:83] offset:16
	v_add_co_u32_e32 v59, vcc, 49, v160
	v_mul_u32_u24_e32 v56, 7, v59
	v_mov_b32_e32 v58, 37
	v_lshlrev_b32_e32 v165, 4, v56
	v_mul_lo_u16_sdwa v56, v160, v58 dst_sel:DWORD dst_unused:UNUSED_PAD src0_sel:BYTE_0 src1_sel:DWORD
	v_sub_u16_sdwa v57, v160, v56 dst_sel:DWORD dst_unused:UNUSED_PAD src0_sel:DWORD src1_sel:BYTE_1
	v_lshrrev_b16_e32 v57, 1, v57
	v_and_b32_e32 v57, 0x7f, v57
	v_add_f64 v[106:107], v[114:115], -v[118:119]
	v_add_u16_sdwa v56, v57, v56 dst_sel:DWORD dst_unused:UNUSED_PAD src0_sel:DWORD src1_sel:BYTE_1
	v_add_f64 v[98:99], v[102:103], -v[110:111]
	v_lshrrev_b16_e32 v56, 2, v56
	v_add_f64 v[88:89], v[120:121], -v[124:125]
	v_add_f64 v[90:91], v[128:129], v[122:123]
	v_mul_lo_u16_e32 v57, 7, v56
	v_add_f64 v[92:93], v[120:121], v[124:125]
	v_add_f64 v[94:95], v[122:123], -v[128:129]
	v_sub_u16_e32 v57, v160, v57
	v_add_f64 v[102:103], v[110:111], v[102:103]
	v_and_b32_e32 v57, 0xff, v57
	v_add_f64 v[110:111], v[118:119], v[114:115]
	ds_write_b128 v164, v[72:75] offset:32
	ds_write_b128 v164, v[60:63] offset:48
	ds_write_b128 v164, v[68:71] offset:64
	ds_write_b128 v164, v[76:79] offset:80
	ds_write_b128 v164, v[84:87] offset:96
	v_mul_u32_u24_e32 v60, 6, v57
	v_lshlrev_b32_e32 v60, 4, v60
	ds_write_b128 v165, v[64:67]
	ds_write_b128 v165, v[104:107] offset:16
	ds_write_b128 v165, v[96:99] offset:32
	;; [unrolled: 1-line block ×6, first 2 shown]
	s_waitcnt lgkmcnt(0)
	; wave barrier
	s_waitcnt lgkmcnt(0)
	global_load_dwordx4 v[76:79], v60, s[10:11]
	global_load_dwordx4 v[72:75], v60, s[10:11] offset:16
	global_load_dwordx4 v[68:71], v60, s[10:11] offset:32
	;; [unrolled: 1-line block ×5, first 2 shown]
	v_mul_lo_u16_sdwa v58, v59, v58 dst_sel:DWORD dst_unused:UNUSED_PAD src0_sel:BYTE_0 src1_sel:DWORD
	v_sub_u16_sdwa v60, v59, v58 dst_sel:DWORD dst_unused:UNUSED_PAD src0_sel:DWORD src1_sel:BYTE_1
	v_lshrrev_b16_e32 v60, 1, v60
	v_and_b32_e32 v60, 0x7f, v60
	v_add_u16_sdwa v58, v60, v58 dst_sel:DWORD dst_unused:UNUSED_PAD src0_sel:DWORD src1_sel:BYTE_1
	v_lshrrev_b16_e32 v58, 2, v58
	v_mul_lo_u16_e32 v60, 7, v58
	v_sub_u16_e32 v59, v59, v60
	v_and_b32_e32 v59, 0xff, v59
	v_mul_u32_u24_e32 v60, 6, v59
	v_lshlrev_b32_e32 v138, 4, v60
	global_load_dwordx4 v[112:115], v138, s[10:11]
	global_load_dwordx4 v[128:131], v138, s[10:11] offset:16
	global_load_dwordx4 v[88:91], v138, s[10:11] offset:32
	;; [unrolled: 1-line block ×4, first 2 shown]
	ds_read_b128 v[60:63], v159 offset:1568
	ds_read_b128 v[92:95], v159 offset:2352
	;; [unrolled: 1-line block ×6, first 2 shown]
	v_mul_u32_u24_e32 v56, 49, v56
	s_waitcnt vmcnt(10) lgkmcnt(5)
	v_mul_f64 v[124:125], v[62:63], v[78:79]
	v_mul_f64 v[126:127], v[60:61], v[78:79]
	s_waitcnt vmcnt(9) lgkmcnt(3)
	v_mul_f64 v[132:133], v[102:103], v[74:75]
	v_mul_f64 v[134:135], v[100:101], v[74:75]
	;; [unrolled: 3-line block ×3, first 2 shown]
	v_fma_f64 v[144:145], v[60:61], v[76:77], -v[124:125]
	v_fma_f64 v[146:147], v[62:63], v[76:77], v[126:127]
	ds_read_b128 v[124:127], v159 offset:6272
	global_load_dwordx4 v[60:63], v138, s[10:11] offset:80
	v_fma_f64 v[148:149], v[100:101], v[72:73], -v[132:133]
	v_fma_f64 v[150:151], v[102:103], v[72:73], v[134:135]
	ds_read_b128 v[100:103], v159 offset:7056
	ds_read_b128 v[132:135], v159 offset:9408
	v_fma_f64 v[166:167], v[104:105], v[68:69], -v[136:137]
	ds_read_b128 v[136:139], v159 offset:7840
	s_waitcnt vmcnt(8) lgkmcnt(3)
	v_mul_f64 v[152:153], v[126:127], v[66:67]
	v_mul_f64 v[154:155], v[124:125], v[66:67]
	v_fma_f64 v[168:169], v[106:107], v[68:69], v[140:141]
	ds_read_b128 v[140:143], v159 offset:8624
	s_waitcnt vmcnt(6) lgkmcnt(2)
	v_mul_f64 v[170:171], v[134:135], v[86:87]
	s_waitcnt lgkmcnt(1)
	v_mul_f64 v[172:173], v[138:139], v[82:83]
	v_mul_f64 v[174:175], v[132:133], v[86:87]
	;; [unrolled: 1-line block ×3, first 2 shown]
	v_fma_f64 v[124:125], v[124:125], v[64:65], -v[152:153]
	s_waitcnt vmcnt(5)
	v_mul_f64 v[152:153], v[94:95], v[114:115]
	v_fma_f64 v[126:127], v[126:127], v[64:65], v[154:155]
	v_mul_f64 v[154:155], v[92:93], v[114:115]
	v_fma_f64 v[132:133], v[132:133], v[84:85], -v[170:171]
	v_fma_f64 v[136:137], v[136:137], v[80:81], -v[172:173]
	v_fma_f64 v[134:135], v[134:135], v[84:85], v[174:175]
	v_fma_f64 v[138:139], v[138:139], v[80:81], v[176:177]
	s_waitcnt vmcnt(4)
	v_mul_f64 v[170:171], v[118:119], v[130:131]
	v_fma_f64 v[152:153], v[92:93], v[112:113], -v[152:153]
	v_mul_f64 v[92:93], v[116:117], v[130:131]
	v_fma_f64 v[154:155], v[94:95], v[112:113], v[154:155]
	v_add_f64 v[172:173], v[144:145], v[132:133]
	v_add_f64 v[174:175], v[148:149], v[136:137]
	;; [unrolled: 1-line block ×4, first 2 shown]
	s_waitcnt vmcnt(3)
	v_mul_f64 v[94:95], v[122:123], v[90:91]
	v_fma_f64 v[170:171], v[116:117], v[128:129], -v[170:171]
	v_fma_f64 v[180:181], v[118:119], v[128:129], v[92:93]
	v_mul_f64 v[92:93], v[120:121], v[90:91]
	v_add_f64 v[116:117], v[166:167], v[124:125]
	v_add_f64 v[118:119], v[174:175], v[172:173]
	;; [unrolled: 1-line block ×4, first 2 shown]
	s_waitcnt vmcnt(2)
	v_mul_f64 v[186:187], v[102:103], v[98:99]
	v_fma_f64 v[188:189], v[120:121], v[88:89], -v[94:95]
	v_mul_f64 v[120:121], v[100:101], v[98:99]
	v_fma_f64 v[194:195], v[122:123], v[88:89], v[92:93]
	v_add_f64 v[126:127], v[126:127], -v[168:169]
	v_add_f64 v[118:119], v[116:117], v[118:119]
	v_add_f64 v[136:137], v[148:149], -v[136:137]
	v_add_f64 v[122:123], v[182:183], v[184:185]
	v_fma_f64 v[184:185], v[100:101], v[96:97], -v[186:187]
	v_add_f64 v[124:125], v[124:125], -v[166:167]
	v_fma_f64 v[186:187], v[102:103], v[96:97], v[120:121]
	v_add_f64 v[120:121], v[150:151], -v[138:139]
	ds_read_b128 v[92:95], v159
	ds_read_b128 v[100:103], v159 offset:784
	s_waitcnt vmcnt(1) lgkmcnt(2)
	v_mul_f64 v[190:191], v[142:143], v[110:111]
	v_mul_f64 v[192:193], v[140:141], v[110:111]
	v_add_f64 v[132:133], v[144:145], -v[132:133]
	s_waitcnt lgkmcnt(1)
	v_add_f64 v[92:93], v[92:93], v[118:119]
	v_add_f64 v[134:135], v[146:147], -v[134:135]
	v_add_f64 v[144:145], v[182:183], -v[178:179]
	;; [unrolled: 1-line block ×4, first 2 shown]
	v_fma_f64 v[140:141], v[140:141], v[108:109], -v[190:191]
	v_fma_f64 v[142:143], v[142:143], v[108:109], v[192:193]
	v_add_f64 v[138:139], v[116:117], -v[174:175]
	v_add_f64 v[146:147], v[174:175], -v[172:173]
	;; [unrolled: 1-line block ×3, first 2 shown]
	v_add_f64 v[166:167], v[126:127], v[120:121]
	v_add_f64 v[120:121], v[120:121], -v[134:135]
	v_mul_f64 v[178:179], v[144:145], s[6:7]
	v_add_f64 v[190:191], v[124:125], v[136:137]
	v_mul_f64 v[148:149], v[148:149], s[24:25]
	v_fma_f64 v[192:193], v[118:119], s[26:27], v[92:93]
	v_add_f64 v[118:119], v[136:137], -v[132:133]
	v_mul_f64 v[136:137], v[168:169], s[24:25]
	v_add_f64 v[116:117], v[172:173], -v[116:117]
	v_add_f64 v[172:173], v[176:177], -v[182:183]
	ds_read_b128 v[104:107], v159 offset:10192
	v_add_f64 v[94:95], v[94:95], v[122:123]
	v_mul_f64 v[174:175], v[138:139], s[6:7]
	v_fma_f64 v[168:169], v[150:151], s[28:29], -v[178:179]
	v_fma_f64 v[176:177], v[120:121], s[14:15], -v[148:149]
	;; [unrolled: 1-line block ×3, first 2 shown]
	s_waitcnt vmcnt(0) lgkmcnt(0)
	v_mul_f64 v[182:183], v[106:107], v[62:63]
	v_mul_f64 v[198:199], v[116:117], s[18:19]
	v_mul_f64 v[172:173], v[172:173], s[18:19]
	v_add_f64 v[124:125], v[132:133], -v[124:125]
	v_add_f64 v[126:127], v[134:135], -v[126:127]
	v_mul_f64 v[120:121], v[120:121], s[22:23]
	v_mul_f64 v[118:119], v[118:119], s[22:23]
	v_fma_f64 v[196:197], v[122:123], s[26:27], v[94:95]
	v_fma_f64 v[122:123], v[146:147], s[28:29], -v[174:175]
	v_add_f64 v[174:175], v[190:191], v[132:133]
	v_add_f64 v[166:167], v[166:167], v[134:135]
	v_fma_f64 v[132:133], v[146:147], s[16:17], -v[198:199]
	v_fma_f64 v[134:135], v[150:151], s[16:17], -v[172:173]
	v_fma_f64 v[146:147], v[104:105], v[60:61], -v[182:183]
	v_fma_f64 v[120:121], v[126:127], s[12:13], v[120:121]
	v_fma_f64 v[118:119], v[124:125], s[12:13], v[118:119]
	v_mul_f64 v[190:191], v[104:105], v[62:63]
	v_add_f64 v[122:123], v[122:123], v[192:193]
	v_add_f64 v[168:169], v[168:169], v[196:197]
	v_fma_f64 v[116:117], v[166:167], s[8:9], v[176:177]
	v_fma_f64 v[176:177], v[174:175], s[8:9], v[178:179]
	v_add_f64 v[132:133], v[132:133], v[192:193]
	v_add_f64 v[134:135], v[134:135], v[196:197]
	;; [unrolled: 1-line block ×4, first 2 shown]
	v_fma_f64 v[202:203], v[166:167], s[8:9], v[120:121]
	v_fma_f64 v[204:205], v[174:175], s[8:9], v[118:119]
	;; [unrolled: 1-line block ×5, first 2 shown]
	v_add_f64 v[104:105], v[122:123], -v[116:117]
	v_add_f64 v[106:107], v[176:177], v[168:169]
	v_add_f64 v[116:117], v[116:117], v[122:123]
	v_add_f64 v[118:119], v[168:169], -v[176:177]
	v_add_f64 v[168:169], v[188:189], v[184:185]
	v_add_f64 v[176:177], v[182:183], v[178:179]
	;; [unrolled: 1-line block ×3, first 2 shown]
	v_add_f64 v[122:123], v[134:135], -v[204:205]
	v_add_f64 v[124:125], v[132:133], -v[202:203]
	v_add_f64 v[126:127], v[204:205], v[134:135]
	v_fma_f64 v[148:149], v[166:167], s[8:9], v[148:149]
	v_fma_f64 v[166:167], v[174:175], s[8:9], v[136:137]
	v_add_f64 v[132:133], v[180:181], -v[142:143]
	v_add_f64 v[136:137], v[186:187], -v[194:195]
	v_add_f64 v[134:135], v[170:171], -v[140:141]
	v_add_f64 v[140:141], v[184:185], -v[188:189]
	v_add_f64 v[190:191], v[154:155], v[150:151]
	v_add_f64 v[200:201], v[180:181], v[142:143]
	v_fma_f64 v[138:139], v[138:139], s[6:7], v[198:199]
	v_fma_f64 v[144:145], v[144:145], s[6:7], v[172:173]
	v_add_f64 v[172:173], v[168:169], v[176:177]
	v_add_f64 v[142:143], v[152:153], -v[146:147]
	v_add_f64 v[146:147], v[154:155], -v[150:151]
	;; [unrolled: 1-line block ×5, first 2 shown]
	v_add_f64 v[206:207], v[194:195], v[186:187]
	v_add_f64 v[208:209], v[200:201], v[190:191]
	;; [unrolled: 1-line block ×4, first 2 shown]
	v_add_f64 v[154:155], v[182:183], -v[178:179]
	v_add_f64 v[182:183], v[136:137], v[132:133]
	v_add_f64 v[184:185], v[132:133], -v[146:147]
	v_mul_f64 v[132:133], v[150:151], s[6:7]
	v_add_f64 v[188:189], v[140:141], v[134:135]
	v_mul_f64 v[170:171], v[170:171], s[24:25]
	v_add_f64 v[192:193], v[134:135], -v[142:143]
	v_mul_f64 v[180:181], v[180:181], s[24:25]
	v_add_f64 v[176:177], v[206:207], v[208:209]
	v_add_f64 v[144:145], v[144:145], v[196:197]
	v_add_f64 v[152:153], v[206:207], -v[200:201]
	v_fma_f64 v[172:173], v[172:173], s[26:27], v[100:101]
	v_fma_f64 v[194:195], v[154:155], s[28:29], -v[132:133]
	v_add_f64 v[188:189], v[188:189], v[142:143]
	v_add_f64 v[182:183], v[182:183], v[146:147]
	v_fma_f64 v[196:197], v[184:185], s[14:15], -v[170:171]
	v_fma_f64 v[198:199], v[192:193], s[14:15], -v[180:181]
	v_add_f64 v[168:169], v[178:179], -v[168:169]
	v_add_f64 v[178:179], v[190:191], -v[206:207]
	v_add_f64 v[102:103], v[102:103], v[176:177]
	v_add_f64 v[174:175], v[200:201], -v[190:191]
	v_mul_f64 v[186:187], v[152:153], s[6:7]
	v_add_f64 v[190:191], v[194:195], v[172:173]
	v_fma_f64 v[194:195], v[182:183], s[8:9], v[196:197]
	v_fma_f64 v[196:197], v[188:189], s[8:9], v[198:199]
	v_add_f64 v[198:199], v[142:143], -v[140:141]
	v_add_f64 v[146:147], v[146:147], -v[136:137]
	v_mul_f64 v[168:169], v[168:169], s[18:19]
	v_mul_f64 v[178:179], v[178:179], s[18:19]
	;; [unrolled: 1-line block ×4, first 2 shown]
	v_fma_f64 v[176:177], v[176:177], s[26:27], v[102:103]
	v_fma_f64 v[186:187], v[174:175], s[28:29], -v[186:187]
	v_add_f64 v[132:133], v[148:149], v[138:139]
	v_add_f64 v[134:135], v[144:145], -v[166:167]
	v_add_f64 v[136:137], v[138:139], -v[148:149]
	v_add_f64 v[138:139], v[166:167], v[144:145]
	v_fma_f64 v[144:145], v[154:155], s[16:17], -v[168:169]
	v_fma_f64 v[148:149], v[174:175], s[16:17], -v[178:179]
	v_fma_f64 v[154:155], v[146:147], s[12:13], v[184:185]
	v_fma_f64 v[166:167], v[198:199], s[12:13], v[192:193]
	;; [unrolled: 1-line block ×6, first 2 shown]
	v_add_f64 v[186:187], v[186:187], v[176:177]
	v_add_f64 v[170:171], v[144:145], v[172:173]
	;; [unrolled: 1-line block ×3, first 2 shown]
	v_fma_f64 v[154:155], v[182:183], s[8:9], v[154:155]
	v_fma_f64 v[166:167], v[188:189], s[8:9], v[166:167]
	v_add_f64 v[172:173], v[150:151], v[172:173]
	v_add_f64 v[176:177], v[152:153], v[176:177]
	v_fma_f64 v[178:179], v[182:183], s[8:9], v[146:147]
	v_fma_f64 v[180:181], v[188:189], s[8:9], v[168:169]
	v_add_f64 v[140:141], v[190:191], -v[194:195]
	v_add_f64 v[142:143], v[196:197], v[186:187]
	v_add_f64 v[148:149], v[154:155], v[170:171]
	v_add_f64 v[150:151], v[174:175], -v[166:167]
	v_add_f64 v[152:153], v[170:171], -v[154:155]
	v_add_f64 v[154:155], v[166:167], v[174:175]
	v_add_f64 v[168:169], v[178:179], v[172:173]
	v_add_f64 v[172:173], v[172:173], -v[178:179]
	v_add_f64 v[174:175], v[180:181], v[176:177]
	v_add_f64 v[170:171], v[176:177], -v[180:181]
	v_add_lshl_u32 v166, v56, v57, 4
	v_mul_u32_u24_e32 v56, 49, v58
	v_add_lshl_u32 v167, v56, v59, 4
	v_mov_b32_e32 v57, s11
	v_mov_b32_e32 v56, s10
	v_add_f64 v[144:145], v[194:195], v[190:191]
	v_add_f64 v[146:147], v[186:187], -v[196:197]
	s_waitcnt lgkmcnt(0)
	; wave barrier
	ds_write_b128 v166, v[92:95]
	ds_write_b128 v166, v[132:135] offset:112
	ds_write_b128 v166, v[120:123] offset:224
	;; [unrolled: 1-line block ×6, first 2 shown]
	v_mad_u64_u32 v[116:117], s[10:11], v160, s33, v[56:57]
	ds_write_b128 v167, v[100:103]
	ds_write_b128 v167, v[168:171] offset:112
	ds_write_b128 v167, v[148:151] offset:224
	;; [unrolled: 1-line block ×6, first 2 shown]
	s_waitcnt lgkmcnt(0)
	; wave barrier
	s_waitcnt lgkmcnt(0)
	global_load_dwordx4 v[144:147], v[116:117], off offset:672
	global_load_dwordx4 v[104:107], v[116:117], off offset:688
	;; [unrolled: 1-line block ×6, first 2 shown]
	ds_read_b128 v[124:127], v159 offset:1568
	ds_read_b128 v[132:135], v159 offset:2352
	;; [unrolled: 1-line block ×6, first 2 shown]
	s_waitcnt vmcnt(5) lgkmcnt(5)
	v_mul_f64 v[118:119], v[126:127], v[146:147]
	v_mul_f64 v[168:169], v[124:125], v[146:147]
	s_waitcnt vmcnt(4) lgkmcnt(3)
	v_mul_f64 v[170:171], v[138:139], v[106:107]
	v_mul_f64 v[172:173], v[136:137], v[106:107]
	;; [unrolled: 3-line block ×3, first 2 shown]
	v_fma_f64 v[118:119], v[124:125], v[144:145], -v[118:119]
	v_fma_f64 v[180:181], v[126:127], v[144:145], v[168:169]
	ds_read_b128 v[124:127], v159 offset:6272
	v_fma_f64 v[182:183], v[136:137], v[104:105], -v[170:171]
	v_fma_f64 v[184:185], v[138:139], v[104:105], v[172:173]
	v_fma_f64 v[186:187], v[140:141], v[92:93], -v[174:175]
	v_fma_f64 v[188:189], v[142:143], v[92:93], v[176:177]
	ds_read_b128 v[136:139], v159 offset:7056
	ds_read_b128 v[140:143], v159 offset:9408
	ds_read_b128 v[168:171], v159 offset:7840
	ds_read_b128 v[176:179], v159 offset:8624
	s_waitcnt vmcnt(2) lgkmcnt(4)
	v_mul_f64 v[190:191], v[126:127], v[102:103]
	v_mul_f64 v[192:193], v[124:125], v[102:103]
	s_waitcnt vmcnt(1) lgkmcnt(2)
	v_mul_f64 v[194:195], v[142:143], v[58:59]
	s_waitcnt vmcnt(0) lgkmcnt(1)
	v_mul_f64 v[196:197], v[170:171], v[122:123]
	v_mul_f64 v[198:199], v[140:141], v[58:59]
	;; [unrolled: 1-line block ×4, first 2 shown]
	s_waitcnt lgkmcnt(0)
	v_mul_f64 v[214:215], v[178:179], v[122:123]
	v_fma_f64 v[190:191], v[124:125], v[100:101], -v[190:191]
	v_mul_f64 v[124:125], v[134:135], v[146:147]
	v_fma_f64 v[192:193], v[126:127], v[100:101], v[192:193]
	v_mul_f64 v[126:127], v[132:133], v[146:147]
	v_fma_f64 v[140:141], v[140:141], v[56:57], -v[194:195]
	v_fma_f64 v[168:169], v[168:169], v[120:121], -v[196:197]
	v_fma_f64 v[142:143], v[142:143], v[56:57], v[198:199]
	v_fma_f64 v[170:171], v[170:171], v[120:121], v[200:201]
	v_mul_f64 v[194:195], v[150:151], v[106:107]
	v_fma_f64 v[196:197], v[132:133], v[144:145], -v[124:125]
	v_mul_f64 v[124:125], v[148:149], v[106:107]
	v_fma_f64 v[198:199], v[134:135], v[144:145], v[126:127]
	v_add_f64 v[200:201], v[118:119], v[140:141]
	v_add_f64 v[202:203], v[182:183], v[168:169]
	v_mul_f64 v[126:127], v[154:155], v[94:95]
	v_add_f64 v[204:205], v[180:181], v[142:143]
	v_add_f64 v[206:207], v[184:185], v[170:171]
	v_fma_f64 v[194:195], v[148:149], v[104:105], -v[194:195]
	v_fma_f64 v[208:209], v[150:151], v[104:105], v[124:125]
	v_mul_f64 v[124:125], v[152:153], v[94:95]
	v_add_f64 v[148:149], v[186:187], v[190:191]
	v_add_f64 v[132:133], v[202:203], v[200:201]
	v_fma_f64 v[212:213], v[152:153], v[92:93], -v[126:127]
	v_mul_f64 v[152:153], v[136:137], v[102:103]
	v_add_f64 v[150:151], v[188:189], v[192:193]
	v_add_f64 v[134:135], v[206:207], v[204:205]
	v_add_f64 v[118:119], v[118:119], -v[140:141]
	v_fma_f64 v[218:219], v[154:155], v[92:93], v[124:125]
	v_add_f64 v[140:141], v[180:181], -v[142:143]
	v_add_f64 v[154:155], v[148:149], v[132:133]
	v_add_f64 v[142:143], v[182:183], -v[168:169]
	v_fma_f64 v[222:223], v[138:139], v[100:101], v[152:153]
	v_add_f64 v[152:153], v[190:191], -v[186:187]
	ds_read_b128 v[124:127], v159
	v_add_f64 v[220:221], v[150:151], v[134:135]
	ds_read_b128 v[132:135], v159 offset:784
	v_fma_f64 v[210:211], v[136:137], v[100:101], -v[210:211]
	v_add_f64 v[136:137], v[184:185], -v[170:171]
	s_waitcnt lgkmcnt(1)
	v_add_f64 v[124:125], v[124:125], v[154:155]
	v_add_f64 v[138:139], v[192:193], -v[188:189]
	v_add_f64 v[168:169], v[148:149], -v[202:203]
	;; [unrolled: 1-line block ×4, first 2 shown]
	v_mul_f64 v[216:217], v[176:177], v[122:123]
	v_add_f64 v[126:127], v[126:127], v[220:221]
	v_add_f64 v[180:181], v[202:203], -v[200:201]
	v_add_f64 v[184:185], v[206:207], -v[204:205]
	;; [unrolled: 1-line block ×3, first 2 shown]
	v_add_f64 v[186:187], v[138:139], v[136:137]
	v_add_f64 v[136:137], v[136:137], -v[140:141]
	v_mul_f64 v[190:191], v[168:169], s[6:7]
	v_mul_f64 v[192:193], v[170:171], s[6:7]
	v_add_f64 v[202:203], v[152:153], v[142:143]
	v_fma_f64 v[206:207], v[154:155], s[26:27], v[124:125]
	v_add_f64 v[142:143], v[142:143], -v[118:119]
	v_mul_f64 v[154:155], v[188:189], s[24:25]
	v_add_f64 v[148:149], v[200:201], -v[148:149]
	v_add_f64 v[150:151], v[204:205], -v[150:151]
	ds_read_b128 v[172:175], v159 offset:10192
	v_fma_f64 v[176:177], v[176:177], v[120:121], -v[214:215]
	v_fma_f64 v[178:179], v[178:179], v[120:121], v[216:217]
	v_mul_f64 v[182:183], v[182:183], s[24:25]
	v_fma_f64 v[214:215], v[220:221], s[26:27], v[126:127]
	v_fma_f64 v[188:189], v[180:181], s[28:29], -v[190:191]
	v_fma_f64 v[190:191], v[184:185], s[28:29], -v[192:193]
	v_add_f64 v[192:193], v[202:203], v[118:119]
	v_add_f64 v[186:187], v[186:187], v[140:141]
	v_fma_f64 v[202:203], v[142:143], s[14:15], -v[154:155]
	s_waitcnt lgkmcnt(0)
	v_mul_f64 v[204:205], v[174:175], v[58:59]
	v_mul_f64 v[216:217], v[172:173], v[58:59]
	;; [unrolled: 1-line block ×4, first 2 shown]
	v_add_f64 v[118:119], v[118:119], -v[152:153]
	v_add_f64 v[152:153], v[140:141], -v[138:139]
	v_mul_f64 v[140:141], v[136:137], s[22:23]
	v_mul_f64 v[142:143], v[142:143], s[22:23]
	v_fma_f64 v[200:201], v[136:137], s[14:15], -v[182:183]
	v_fma_f64 v[172:173], v[172:173], v[56:57], -v[204:205]
	;; [unrolled: 1-line block ×4, first 2 shown]
	v_fma_f64 v[174:175], v[174:175], v[56:57], v[216:217]
	v_add_f64 v[188:189], v[188:189], v[206:207]
	v_fma_f64 v[140:141], v[152:153], s[12:13], v[140:141]
	v_fma_f64 v[142:143], v[118:119], s[12:13], v[142:143]
	v_add_f64 v[190:191], v[190:191], v[214:215]
	v_fma_f64 v[148:149], v[186:187], s[8:9], v[200:201]
	v_fma_f64 v[150:151], v[192:193], s[8:9], v[202:203]
	v_add_f64 v[180:181], v[180:181], v[206:207]
	v_add_f64 v[184:185], v[184:185], v[214:215]
	;; [unrolled: 1-line block ×6, first 2 shown]
	v_fma_f64 v[226:227], v[186:187], s[8:9], v[140:141]
	v_fma_f64 v[228:229], v[192:193], s[8:9], v[142:143]
	;; [unrolled: 1-line block ×4, first 2 shown]
	v_add_f64 v[136:137], v[188:189], -v[148:149]
	v_add_f64 v[138:139], v[150:151], v[190:191]
	v_add_f64 v[140:141], v[148:149], v[188:189]
	v_add_f64 v[142:143], v[190:191], -v[150:151]
	v_add_f64 v[188:189], v[212:213], v[210:211]
	v_add_f64 v[190:191], v[202:203], v[200:201]
	;; [unrolled: 1-line block ×5, first 2 shown]
	v_add_f64 v[150:151], v[184:185], -v[228:229]
	v_fma_f64 v[182:183], v[152:153], s[20:21], v[182:183]
	v_fma_f64 v[118:119], v[118:119], s[20:21], v[154:155]
	v_add_f64 v[152:153], v[180:181], -v[226:227]
	v_add_f64 v[154:155], v[228:229], v[184:185]
	v_add_f64 v[180:181], v[168:169], v[206:207]
	;; [unrolled: 1-line block ×3, first 2 shown]
	v_add_f64 v[168:169], v[208:209], -v[178:179]
	v_add_f64 v[178:179], v[222:223], -v[218:219]
	;; [unrolled: 1-line block ×4, first 2 shown]
	v_add_f64 v[190:191], v[188:189], v[190:191]
	v_add_f64 v[220:221], v[230:231], v[232:233]
	v_fma_f64 v[182:183], v[186:187], s[8:9], v[182:183]
	v_add_f64 v[172:173], v[196:197], -v[172:173]
	v_add_f64 v[174:175], v[198:199], -v[174:175]
	v_add_f64 v[186:187], v[188:189], -v[202:203]
	v_add_f64 v[194:195], v[202:203], -v[200:201]
	v_add_f64 v[196:197], v[178:179], -v[168:169]
	v_add_f64 v[202:203], v[176:177], -v[170:171]
	v_add_f64 v[132:133], v[132:133], v[190:191]
	v_add_f64 v[134:135], v[134:135], v[220:221]
	;; [unrolled: 1-line block ×3, first 2 shown]
	v_add_f64 v[208:209], v[168:169], -v[174:175]
	v_mul_f64 v[168:169], v[186:187], s[6:7]
	v_add_f64 v[212:213], v[176:177], v[170:171]
	v_mul_f64 v[196:197], v[196:197], s[24:25]
	v_add_f64 v[214:215], v[170:171], -v[172:173]
	v_mul_f64 v[202:203], v[202:203], s[24:25]
	v_add_f64 v[188:189], v[200:201], -v[188:189]
	v_fma_f64 v[118:119], v[192:193], s[8:9], v[118:119]
	v_add_f64 v[192:193], v[230:231], -v[216:217]
	v_add_f64 v[198:199], v[216:217], -v[204:205]
	v_fma_f64 v[190:191], v[190:191], s[26:27], v[132:133]
	v_fma_f64 v[216:217], v[220:221], s[26:27], v[134:135]
	v_fma_f64 v[218:219], v[194:195], s[28:29], -v[168:169]
	v_add_f64 v[212:213], v[212:213], v[172:173]
	v_add_f64 v[206:207], v[206:207], v[174:175]
	v_fma_f64 v[220:221], v[208:209], s[14:15], -v[196:197]
	v_fma_f64 v[222:223], v[214:215], s[14:15], -v[202:203]
	v_add_f64 v[200:201], v[204:205], -v[230:231]
	v_add_f64 v[224:225], v[174:175], -v[178:179]
	v_mul_f64 v[188:189], v[188:189], s[18:19]
	v_mul_f64 v[208:209], v[208:209], s[22:23]
	;; [unrolled: 1-line block ×3, first 2 shown]
	v_add_f64 v[204:205], v[218:219], v[190:191]
	v_fma_f64 v[218:219], v[206:207], s[8:9], v[220:221]
	v_fma_f64 v[220:221], v[212:213], s[8:9], v[222:223]
	v_add_f64 v[222:223], v[172:173], -v[176:177]
	v_mul_f64 v[200:201], v[200:201], s[18:19]
	v_mul_f64 v[214:215], v[214:215], s[22:23]
	v_add_f64 v[168:169], v[182:183], v[180:181]
	v_add_f64 v[170:171], v[184:185], -v[118:119]
	v_add_f64 v[172:173], v[180:181], -v[182:183]
	v_add_f64 v[174:175], v[118:119], v[184:185]
	v_fma_f64 v[118:119], v[194:195], s[16:17], -v[188:189]
	v_fma_f64 v[182:183], v[224:225], s[12:13], v[208:209]
	v_fma_f64 v[210:211], v[198:199], s[28:29], -v[210:211]
	v_fma_f64 v[180:181], v[198:199], s[16:17], -v[200:201]
	v_fma_f64 v[184:185], v[222:223], s[12:13], v[214:215]
	v_fma_f64 v[186:187], v[186:187], s[6:7], v[188:189]
	;; [unrolled: 1-line block ×5, first 2 shown]
	v_add_f64 v[118:119], v[118:119], v[190:191]
	v_fma_f64 v[198:199], v[206:207], s[8:9], v[182:183]
	v_add_f64 v[210:211], v[210:211], v[216:217]
	v_add_f64 v[196:197], v[180:181], v[216:217]
	v_fma_f64 v[200:201], v[212:213], s[8:9], v[184:185]
	v_add_f64 v[202:203], v[186:187], v[190:191]
	v_add_f64 v[208:209], v[188:189], v[216:217]
	v_fma_f64 v[206:207], v[206:207], s[8:9], v[192:193]
	v_fma_f64 v[212:213], v[212:213], s[8:9], v[194:195]
	v_add_f64 v[184:185], v[198:199], v[118:119]
	v_add_f64 v[188:189], v[118:119], -v[198:199]
	v_mul_i32_i24_e32 v118, 0xffffffb0, v160
	v_add_f64 v[176:177], v[204:205], -v[218:219]
	v_add_f64 v[178:179], v[220:221], v[210:211]
	v_add_f64 v[180:181], v[218:219], v[204:205]
	v_add_f64 v[182:183], v[210:211], -v[220:221]
	v_add_f64 v[186:187], v[196:197], -v[200:201]
	v_add_f64 v[190:191], v[200:201], v[196:197]
	v_add_f64 v[192:193], v[206:207], v[202:203]
	v_add_f64 v[194:195], v[208:209], -v[212:213]
	v_add_f64 v[196:197], v[202:203], -v[206:207]
	v_add_f64 v[198:199], v[212:213], v[208:209]
	s_waitcnt lgkmcnt(0)
	; wave barrier
	ds_write_b128 v159, v[124:127]
	ds_write_b128 v159, v[168:171] offset:784
	ds_write_b128 v159, v[148:151] offset:1568
	;; [unrolled: 1-line block ×13, first 2 shown]
	v_mul_hi_i32_i24_e32 v119, 0xffffffb0, v160
	v_add_co_u32_e32 v140, vcc, v116, v118
	v_addc_co_u32_e32 v141, vcc, v117, v119, vcc
	v_add_co_u32_e32 v136, vcc, s30, v140
	v_addc_co_u32_e32 v137, vcc, 0, v141, vcc
	s_waitcnt lgkmcnt(0)
	; wave barrier
	s_waitcnt lgkmcnt(0)
	global_load_dwordx4 v[116:119], v[136:137], off offset:1280
	global_load_dwordx4 v[124:127], v[136:137], off offset:2064
	;; [unrolled: 1-line block ×3, first 2 shown]
	s_nop 0
	global_load_dwordx4 v[136:139], v[136:137], off offset:3632
	v_add_co_u32_e32 v152, vcc, s31, v140
	v_addc_co_u32_e32 v153, vcc, 0, v141, vcc
	global_load_dwordx4 v[140:143], v[152:153], off offset:320
	global_load_dwordx4 v[148:151], v[152:153], off offset:1104
	s_nop 0
	global_load_dwordx4 v[152:155], v[152:153], off offset:1888
	ds_read_b128 v[168:171], v159 offset:5488
	ds_read_b128 v[172:175], v159 offset:6272
	;; [unrolled: 1-line block ×4, first 2 shown]
	s_movk_i32 s9, 0x2ae0
	s_mov_b32 s25, 0x3fe11646
	s_waitcnt vmcnt(6) lgkmcnt(3)
	v_mul_f64 v[184:185], v[170:171], v[118:119]
	v_mul_f64 v[186:187], v[168:169], v[118:119]
	s_waitcnt vmcnt(5) lgkmcnt(2)
	v_mul_f64 v[188:189], v[174:175], v[126:127]
	v_mul_f64 v[190:191], v[172:173], v[126:127]
	v_fma_f64 v[192:193], v[168:169], v[116:117], -v[184:185]
	v_fma_f64 v[194:195], v[170:171], v[116:117], v[186:187]
	ds_read_b128 v[168:171], v159 offset:7840
	v_fma_f64 v[196:197], v[172:173], v[124:125], -v[188:189]
	v_fma_f64 v[198:199], v[174:175], v[124:125], v[190:191]
	s_waitcnt vmcnt(4) lgkmcnt(1)
	v_mul_f64 v[200:201], v[182:183], v[134:135]
	ds_read_b128 v[172:175], v159 offset:8624
	ds_read_b128 v[184:187], v159 offset:9408
	s_waitcnt vmcnt(3) lgkmcnt(2)
	v_mul_f64 v[204:205], v[170:171], v[138:139]
	v_mul_f64 v[206:207], v[168:169], v[138:139]
	ds_read_b128 v[188:191], v159 offset:10192
	v_mul_f64 v[202:203], v[180:181], v[134:135]
	s_waitcnt vmcnt(2) lgkmcnt(2)
	v_mul_f64 v[208:209], v[174:175], v[142:143]
	v_mul_f64 v[210:211], v[172:173], v[142:143]
	s_waitcnt vmcnt(1) lgkmcnt(1)
	v_mul_f64 v[212:213], v[186:187], v[150:151]
	v_fma_f64 v[200:201], v[180:181], v[132:133], -v[200:201]
	v_mul_f64 v[180:181], v[184:185], v[150:151]
	v_fma_f64 v[214:215], v[168:169], v[136:137], -v[204:205]
	v_fma_f64 v[216:217], v[170:171], v[136:137], v[206:207]
	s_waitcnt vmcnt(0) lgkmcnt(0)
	v_mul_f64 v[204:205], v[190:191], v[154:155]
	v_mul_f64 v[206:207], v[188:189], v[154:155]
	ds_read_b128 v[168:171], v159
	v_fma_f64 v[202:203], v[182:183], v[132:133], v[202:203]
	v_fma_f64 v[218:219], v[172:173], v[140:141], -v[208:209]
	v_fma_f64 v[220:221], v[174:175], v[140:141], v[210:211]
	ds_read_b128 v[172:175], v159 offset:784
	v_fma_f64 v[222:223], v[184:185], v[148:149], -v[212:213]
	v_fma_f64 v[224:225], v[186:187], v[148:149], v[180:181]
	ds_read_b128 v[184:187], v159 offset:1568
	s_waitcnt lgkmcnt(2)
	v_add_f64 v[180:181], v[168:169], -v[192:193]
	v_add_f64 v[182:183], v[170:171], -v[194:195]
	v_fma_f64 v[226:227], v[188:189], v[152:153], -v[204:205]
	v_fma_f64 v[228:229], v[190:191], v[152:153], v[206:207]
	s_waitcnt lgkmcnt(1)
	v_add_f64 v[192:193], v[172:173], -v[196:197]
	v_add_f64 v[194:195], v[174:175], -v[198:199]
	ds_read_b128 v[196:199], v159 offset:2352
	ds_read_b128 v[188:191], v159 offset:3136
	;; [unrolled: 1-line block ×3, first 2 shown]
	s_waitcnt lgkmcnt(3)
	v_add_f64 v[200:201], v[184:185], -v[200:201]
	v_add_f64 v[202:203], v[186:187], -v[202:203]
	s_waitcnt lgkmcnt(2)
	v_add_f64 v[208:209], v[196:197], -v[214:215]
	v_add_f64 v[210:211], v[198:199], -v[216:217]
	v_fma_f64 v[168:169], v[168:169], 2.0, -v[180:181]
	v_fma_f64 v[170:171], v[170:171], 2.0, -v[182:183]
	s_waitcnt lgkmcnt(1)
	v_add_f64 v[212:213], v[188:189], -v[218:219]
	v_add_f64 v[214:215], v[190:191], -v[220:221]
	s_waitcnt lgkmcnt(0)
	v_add_f64 v[216:217], v[204:205], -v[222:223]
	v_add_f64 v[218:219], v[206:207], -v[224:225]
	;; [unrolled: 1-line block ×4, first 2 shown]
	v_fma_f64 v[172:173], v[172:173], 2.0, -v[192:193]
	v_fma_f64 v[174:175], v[174:175], 2.0, -v[194:195]
	;; [unrolled: 1-line block ×12, first 2 shown]
	ds_write_b128 v159, v[168:171]
	ds_write_b128 v159, v[180:183] offset:5488
	ds_write_b128 v159, v[172:175] offset:784
	;; [unrolled: 1-line block ×13, first 2 shown]
	s_waitcnt lgkmcnt(0)
	; wave barrier
	s_waitcnt lgkmcnt(0)
	global_load_dwordx4 v[168:171], v[157:158], off offset:2784
	v_add_co_u32_e32 v157, vcc, s9, v162
	v_addc_co_u32_e32 v158, vcc, 0, v163, vcc
	global_load_dwordx4 v[172:175], v[157:158], off offset:1568
	global_load_dwordx4 v[176:179], v[157:158], off offset:3136
	s_movk_i32 s9, 0x3000
	v_add_co_u32_e32 v180, vcc, s9, v162
	v_addc_co_u32_e32 v181, vcc, 0, v163, vcc
	global_load_dwordx4 v[180:183], v[180:181], off offset:3392
	s_movk_i32 s9, 0x4000
	v_add_co_u32_e32 v244, vcc, s9, v162
	v_addc_co_u32_e32 v245, vcc, 0, v163, vcc
	global_load_dwordx4 v[184:187], v[244:245], off offset:864
	global_load_dwordx4 v[188:191], v[244:245], off offset:2432
	ds_read_b128 v[192:195], v159
	ds_read_b128 v[200:203], v159 offset:784
	ds_read_b128 v[204:207], v159 offset:1568
	;; [unrolled: 1-line block ×5, first 2 shown]
	global_load_dwordx4 v[196:199], v[157:158], off offset:784
	global_load_dwordx4 v[212:215], v[157:158], off offset:2352
	;; [unrolled: 1-line block ×4, first 2 shown]
	ds_read_b128 v[236:239], v159 offset:7056
	s_movk_i32 s9, 0x5000
	s_waitcnt vmcnt(9) lgkmcnt(6)
	v_mul_f64 v[228:229], v[194:195], v[170:171]
	v_mul_f64 v[170:171], v[192:193], v[170:171]
	s_waitcnt vmcnt(8) lgkmcnt(4)
	v_mul_f64 v[230:231], v[206:207], v[174:175]
	v_mul_f64 v[174:175], v[204:205], v[174:175]
	;; [unrolled: 3-line block ×3, first 2 shown]
	v_fma_f64 v[192:193], v[192:193], v[168:169], -v[228:229]
	v_fma_f64 v[194:195], v[194:195], v[168:169], v[170:171]
	v_fma_f64 v[168:169], v[204:205], v[172:173], -v[230:231]
	v_fma_f64 v[170:171], v[206:207], v[172:173], v[174:175]
	ds_read_b128 v[204:207], v159 offset:4704
	ds_read_b128 v[228:231], v159 offset:5488
	v_fma_f64 v[172:173], v[208:209], v[176:177], -v[157:158]
	v_fma_f64 v[174:175], v[210:211], v[176:177], v[178:179]
	ds_read_b128 v[176:179], v159 offset:6272
	s_waitcnt vmcnt(6) lgkmcnt(2)
	v_mul_f64 v[157:158], v[206:207], v[182:183]
	v_mul_f64 v[182:183], v[204:205], v[182:183]
	global_load_dwordx4 v[208:211], v[244:245], off offset:80
	s_waitcnt vmcnt(6) lgkmcnt(0)
	v_mul_f64 v[240:241], v[178:179], v[186:187]
	v_mul_f64 v[186:187], v[176:177], v[186:187]
	v_fma_f64 v[204:205], v[204:205], v[180:181], -v[157:158]
	v_fma_f64 v[206:207], v[206:207], v[180:181], v[182:183]
	ds_read_b128 v[180:183], v159 offset:7840
	v_fma_f64 v[176:177], v[176:177], v[184:185], -v[240:241]
	ds_read_b128 v[240:243], v159 offset:8624
	v_fma_f64 v[178:179], v[178:179], v[184:185], v[186:187]
	s_waitcnt vmcnt(5) lgkmcnt(1)
	v_mul_f64 v[157:158], v[182:183], v[190:191]
	v_mul_f64 v[190:191], v[180:181], v[190:191]
	global_load_dwordx4 v[184:187], v[244:245], off offset:3216
	v_fma_f64 v[180:181], v[180:181], v[188:189], -v[157:158]
	v_fma_f64 v[182:183], v[182:183], v[188:189], v[190:191]
	global_load_dwordx4 v[188:191], v[244:245], off offset:4000
	v_add_co_u32_e32 v157, vcc, s9, v162
	v_addc_co_u32_e32 v158, vcc, 0, v163, vcc
	global_load_dwordx4 v[244:247], v[157:158], off offset:688
	ds_read_b128 v[248:251], v159 offset:9408
	ds_read_b128 v[252:255], v159 offset:10192
	s_mov_b32 s9, 0xbfdc38aa
	s_waitcnt vmcnt(1) lgkmcnt(1)
	v_mul_f64 v[157:158], v[250:251], v[190:191]
	v_mul_f64 v[162:163], v[248:249], v[190:191]
	v_fma_f64 v[248:249], v[248:249], v[188:189], -v[157:158]
	v_fma_f64 v[250:251], v[250:251], v[188:189], v[162:163]
	v_mul_f64 v[157:158], v[202:203], v[198:199]
	v_mul_f64 v[162:163], v[200:201], v[198:199]
	v_fma_f64 v[188:189], v[200:201], v[196:197], -v[157:158]
	v_fma_f64 v[190:191], v[202:203], v[196:197], v[162:163]
	v_mul_f64 v[157:158], v[218:219], v[214:215]
	v_mul_f64 v[162:163], v[216:217], v[214:215]
	;; [unrolled: 1-line block ×3, first 2 shown]
	v_fma_f64 v[196:197], v[216:217], v[212:213], -v[157:158]
	v_fma_f64 v[198:199], v[218:219], v[212:213], v[162:163]
	v_mul_f64 v[157:158], v[226:227], v[222:223]
	v_mul_f64 v[212:213], v[230:231], v[210:211]
	;; [unrolled: 1-line block ×3, first 2 shown]
	s_waitcnt vmcnt(0) lgkmcnt(0)
	v_mul_f64 v[222:223], v[254:255], v[246:247]
	v_fma_f64 v[200:201], v[224:225], v[220:221], -v[157:158]
	v_fma_f64 v[210:211], v[228:229], v[208:209], -v[212:213]
	v_fma_f64 v[212:213], v[230:231], v[208:209], v[214:215]
	v_mul_f64 v[208:209], v[242:243], v[186:187]
	v_mul_f64 v[186:187], v[240:241], v[186:187]
	;; [unrolled: 1-line block ×3, first 2 shown]
	v_fma_f64 v[202:203], v[226:227], v[220:221], v[162:163]
	v_mul_f64 v[157:158], v[238:239], v[234:235]
	v_mul_f64 v[162:163], v[236:237], v[234:235]
	v_fma_f64 v[218:219], v[240:241], v[184:185], -v[208:209]
	v_fma_f64 v[220:221], v[242:243], v[184:185], v[186:187]
	v_fma_f64 v[184:185], v[252:253], v[244:245], -v[222:223]
	v_fma_f64 v[186:187], v[254:255], v[244:245], v[224:225]
	;; [unrolled: 2-line block ×3, first 2 shown]
	ds_write_b128 v159, v[192:195]
	ds_write_b128 v159, v[168:171] offset:1568
	ds_write_b128 v159, v[172:175] offset:3136
	;; [unrolled: 1-line block ×13, first 2 shown]
	s_waitcnt lgkmcnt(0)
	; wave barrier
	s_waitcnt lgkmcnt(0)
	ds_read_b128 v[168:171], v159 offset:9408
	ds_read_b128 v[172:175], v159 offset:1568
	ds_read_b128 v[176:179], v159 offset:2352
	ds_read_b128 v[180:183], v159 offset:10192
	ds_read_b128 v[184:187], v159 offset:7840
	ds_read_b128 v[188:191], v159 offset:3136
	s_waitcnt lgkmcnt(4)
	v_add_f64 v[157:158], v[172:173], v[168:169]
	v_add_f64 v[162:163], v[174:175], v[170:171]
	v_add_f64 v[200:201], v[172:173], -v[168:169]
	s_waitcnt lgkmcnt(0)
	v_add_f64 v[204:205], v[188:189], v[184:185]
	v_add_f64 v[206:207], v[190:191], v[186:187]
	v_add_f64 v[202:203], v[174:175], -v[170:171]
	ds_read_b128 v[168:171], v159 offset:3920
	ds_read_b128 v[172:175], v159 offset:8624
	;; [unrolled: 1-line block ×4, first 2 shown]
	v_add_f64 v[208:209], v[188:189], -v[184:185]
	v_add_f64 v[218:219], v[176:177], v[180:181]
	v_add_f64 v[220:221], v[178:179], v[182:183]
	v_add_f64 v[222:223], v[176:177], -v[180:181]
	s_waitcnt lgkmcnt(0)
	v_add_f64 v[212:213], v[196:197], v[192:193]
	v_add_f64 v[214:215], v[198:199], v[194:195]
	v_add_f64 v[192:193], v[192:193], -v[196:197]
	v_add_f64 v[196:197], v[204:205], v[157:158]
	v_add_f64 v[216:217], v[206:207], v[162:163]
	v_add_f64 v[224:225], v[178:179], -v[182:183]
	v_add_f64 v[210:211], v[190:191], -v[186:187]
	ds_read_b128 v[184:187], v159 offset:5488
	ds_read_b128 v[188:191], v159 offset:7056
	ds_read_b128 v[176:179], v159
	v_add_f64 v[194:195], v[194:195], -v[198:199]
	v_add_f64 v[226:227], v[168:169], v[172:173]
	v_add_f64 v[180:181], v[212:213], v[196:197]
	;; [unrolled: 1-line block ×4, first 2 shown]
	v_add_f64 v[228:229], v[168:169], -v[172:173]
	v_add_f64 v[230:231], v[170:171], -v[174:175]
	ds_read_b128 v[168:171], v159 offset:784
	v_add_f64 v[196:197], v[212:213], -v[204:205]
	v_add_f64 v[234:235], v[192:193], -v[208:209]
	s_waitcnt lgkmcnt(1)
	v_add_f64 v[172:173], v[176:177], v[180:181]
	v_add_f64 v[174:175], v[178:179], v[182:183]
	v_add_f64 v[176:177], v[204:205], -v[157:158]
	v_add_f64 v[198:199], v[214:215], -v[206:207]
	;; [unrolled: 1-line block ×4, first 2 shown]
	v_add_f64 v[206:207], v[194:195], v[210:211]
	v_add_f64 v[210:211], v[210:211], -v[202:203]
	v_mul_f64 v[236:237], v[196:197], s[6:7]
	v_add_f64 v[240:241], v[192:193], v[208:209]
	v_fma_f64 v[242:243], v[180:181], s[26:27], v[172:173]
	v_fma_f64 v[244:245], v[182:183], s[26:27], v[174:175]
	v_add_f64 v[180:181], v[208:209], -v[200:201]
	v_mul_f64 v[182:183], v[234:235], s[24:25]
	v_add_f64 v[157:158], v[157:158], -v[212:213]
	v_add_f64 v[162:163], v[162:163], -v[214:215]
	v_mul_f64 v[238:239], v[198:199], s[6:7]
	v_mul_f64 v[204:205], v[204:205], s[24:25]
	v_fma_f64 v[208:209], v[176:177], s[28:29], -v[236:237]
	v_add_f64 v[236:237], v[240:241], v[200:201]
	v_add_f64 v[192:193], v[200:201], -v[192:193]
	v_fma_f64 v[214:215], v[180:181], s[22:23], -v[182:183]
	v_mul_f64 v[157:158], v[157:158], s[18:19]
	v_mul_f64 v[162:163], v[162:163], s[18:19]
	v_add_f64 v[194:195], v[202:203], -v[194:195]
	v_mul_f64 v[200:201], v[210:211], s[14:15]
	v_mul_f64 v[180:181], v[180:181], s[14:15]
	v_add_f64 v[232:233], v[184:185], v[188:189]
	v_fma_f64 v[234:235], v[178:179], s[28:29], -v[238:239]
	v_add_f64 v[206:207], v[206:207], v[202:203]
	v_fma_f64 v[212:213], v[210:211], s[22:23], -v[204:205]
	;; [unrolled: 2-line block ×3, first 2 shown]
	v_fma_f64 v[210:211], v[178:179], s[16:17], -v[162:163]
	v_add_f64 v[240:241], v[188:189], -v[184:185]
	v_add_f64 v[246:247], v[190:191], -v[186:187]
	v_fma_f64 v[184:185], v[194:195], s[20:21], v[200:201]
	v_fma_f64 v[180:181], v[192:193], s[20:21], v[180:181]
	;; [unrolled: 1-line block ×6, first 2 shown]
	v_add_f64 v[188:189], v[202:203], v[242:243]
	v_add_f64 v[190:191], v[210:211], v[244:245]
	v_fma_f64 v[194:195], v[206:207], s[8:9], v[184:185]
	v_fma_f64 v[196:197], v[236:237], s[8:9], v[180:181]
	v_add_f64 v[157:158], v[157:158], v[242:243]
	v_add_f64 v[162:163], v[162:163], v[244:245]
	v_fma_f64 v[198:199], v[206:207], s[8:9], v[186:187]
	v_fma_f64 v[200:201], v[236:237], s[8:9], v[192:193]
	;; [unrolled: 4-line block ×3, first 2 shown]
	v_add_f64 v[184:185], v[188:189], v[194:195]
	v_add_f64 v[188:189], v[188:189], -v[194:195]
	v_add_f64 v[192:193], v[157:158], v[198:199]
	v_add_f64 v[194:195], v[162:163], -v[200:201]
	v_add_f64 v[186:187], v[190:191], -v[196:197]
	v_add_f64 v[190:191], v[196:197], v[190:191]
	v_add_f64 v[176:177], v[208:209], -v[212:213]
	v_add_f64 v[178:179], v[214:215], v[234:235]
	v_add_f64 v[180:181], v[208:209], v[212:213]
	v_add_f64 v[182:183], v[234:235], -v[214:215]
	v_add_f64 v[202:203], v[226:227], v[218:219]
	v_add_f64 v[204:205], v[216:217], v[220:221]
	s_waitcnt lgkmcnt(0)
	; wave barrier
	s_waitcnt lgkmcnt(0)
	ds_write_b128 v164, v[172:175]
	ds_write_b128 v164, v[192:195] offset:16
	ds_write_b128 v164, v[184:187] offset:32
	;; [unrolled: 1-line block ×5, first 2 shown]
	v_add_f64 v[176:177], v[246:247], -v[230:231]
	v_add_f64 v[186:187], v[240:241], -v[228:229]
	;; [unrolled: 1-line block ×3, first 2 shown]
	v_add_f64 v[198:199], v[200:201], v[162:163]
	v_add_f64 v[157:158], v[232:233], v[202:203]
	;; [unrolled: 1-line block ×3, first 2 shown]
	v_add_f64 v[172:173], v[232:233], -v[226:227]
	v_add_f64 v[174:175], v[238:239], -v[216:217]
	;; [unrolled: 1-line block ×5, first 2 shown]
	v_mul_f64 v[176:177], v[176:177], s[24:25]
	v_add_f64 v[194:195], v[228:229], -v[222:223]
	v_mul_f64 v[186:187], v[186:187], s[24:25]
	v_add_f64 v[168:169], v[168:169], v[157:158]
	v_add_f64 v[170:171], v[170:171], v[162:163]
	v_add_f64 v[178:179], v[226:227], -v[218:219]
	v_add_f64 v[180:181], v[216:217], -v[220:221]
	v_add_f64 v[182:183], v[246:247], v[230:231]
	v_mul_f64 v[188:189], v[172:173], s[6:7]
	v_mul_f64 v[190:191], v[174:175], s[6:7]
	v_add_f64 v[192:193], v[240:241], v[228:229]
	v_add_f64 v[208:209], v[224:225], -v[246:247]
	v_mul_f64 v[200:201], v[200:201], s[18:19]
	v_mul_f64 v[202:203], v[202:203], s[18:19]
	v_add_f64 v[210:211], v[222:223], -v[240:241]
	v_fma_f64 v[204:205], v[184:185], s[22:23], -v[176:177]
	v_fma_f64 v[206:207], v[194:195], s[22:23], -v[186:187]
	v_mul_f64 v[184:185], v[184:185], s[14:15]
	v_mul_f64 v[194:195], v[194:195], s[14:15]
	v_fma_f64 v[157:158], v[157:158], s[26:27], v[168:169]
	v_fma_f64 v[162:163], v[162:163], s[26:27], v[170:171]
	v_fma_f64 v[188:189], v[178:179], s[28:29], -v[188:189]
	v_fma_f64 v[190:191], v[180:181], s[28:29], -v[190:191]
	v_add_f64 v[192:193], v[192:193], v[222:223]
	v_add_f64 v[182:183], v[182:183], v[224:225]
	v_fma_f64 v[178:179], v[178:179], s[16:17], -v[200:201]
	v_fma_f64 v[180:181], v[180:181], s[16:17], -v[202:203]
	v_fma_f64 v[172:173], v[172:173], s[6:7], v[200:201]
	v_fma_f64 v[174:175], v[174:175], s[6:7], v[202:203]
	;; [unrolled: 1-line block ×6, first 2 shown]
	v_add_f64 v[188:189], v[188:189], v[157:158]
	v_add_f64 v[190:191], v[190:191], v[162:163]
	;; [unrolled: 1-line block ×6, first 2 shown]
	v_fma_f64 v[210:211], v[182:183], s[8:9], v[176:177]
	v_fma_f64 v[212:213], v[192:193], s[8:9], v[186:187]
	;; [unrolled: 1-line block ×6, first 2 shown]
	v_add_f64 v[184:185], v[157:158], v[210:211]
	v_add_f64 v[186:187], v[162:163], -v[212:213]
	v_add_f64 v[174:175], v[206:207], v[190:191]
	v_add_f64 v[180:181], v[200:201], v[208:209]
	v_add_f64 v[182:183], v[202:203], -v[192:193]
	v_add_f64 v[172:173], v[188:189], -v[204:205]
	v_add_f64 v[176:177], v[188:189], v[204:205]
	v_add_f64 v[178:179], v[190:191], -v[206:207]
	v_add_f64 v[188:189], v[200:201], -v[208:209]
	v_add_f64 v[190:191], v[192:193], v[202:203]
	v_add_f64 v[192:193], v[157:158], -v[210:211]
	v_add_f64 v[194:195], v[212:213], v[162:163]
	ds_write_b128 v164, v[196:199] offset:96
	ds_write_b128 v165, v[168:171]
	ds_write_b128 v165, v[184:187] offset:16
	ds_write_b128 v165, v[180:183] offset:32
	;; [unrolled: 1-line block ×6, first 2 shown]
	s_waitcnt lgkmcnt(0)
	; wave barrier
	s_waitcnt lgkmcnt(0)
	ds_read_b128 v[162:165], v159 offset:1568
	ds_read_b128 v[168:171], v159 offset:2352
	;; [unrolled: 1-line block ×7, first 2 shown]
	s_waitcnt lgkmcnt(6)
	v_mul_f64 v[157:158], v[78:79], v[164:165]
	v_mul_f64 v[78:79], v[78:79], v[162:163]
	ds_read_b128 v[192:195], v159 offset:7056
	s_waitcnt lgkmcnt(3)
	v_mul_f64 v[196:197], v[70:71], v[182:183]
	v_mul_f64 v[70:71], v[70:71], v[180:181]
	s_waitcnt lgkmcnt(2)
	v_mul_f64 v[198:199], v[66:67], v[186:187]
	v_mul_f64 v[200:201], v[130:131], v[178:179]
	;; [unrolled: 1-line block ×3, first 2 shown]
	v_fma_f64 v[157:158], v[76:77], v[162:163], v[157:158]
	v_mul_f64 v[162:163], v[74:75], v[174:175]
	v_mul_f64 v[74:75], v[74:75], v[172:173]
	v_fma_f64 v[78:79], v[76:77], v[164:165], -v[78:79]
	v_mul_f64 v[76:77], v[66:67], v[184:185]
	v_fma_f64 v[180:181], v[68:69], v[180:181], v[196:197]
	v_fma_f64 v[182:183], v[68:69], v[182:183], -v[70:71]
	ds_read_b128 v[66:69], v159 offset:7840
	v_fma_f64 v[184:185], v[64:65], v[184:185], v[198:199]
	v_fma_f64 v[172:173], v[72:73], v[172:173], v[162:163]
	v_fma_f64 v[174:175], v[72:73], v[174:175], -v[74:75]
	ds_read_b128 v[70:73], v159 offset:9408
	v_fma_f64 v[186:187], v[64:65], v[186:187], -v[76:77]
	ds_read_b128 v[74:77], v159 offset:8624
	s_waitcnt lgkmcnt(2)
	v_mul_f64 v[64:65], v[82:83], v[68:69]
	v_mul_f64 v[82:83], v[82:83], v[66:67]
	s_waitcnt lgkmcnt(1)
	v_mul_f64 v[196:197], v[86:87], v[72:73]
	v_mul_f64 v[86:87], v[86:87], v[70:71]
	;; [unrolled: 1-line block ×4, first 2 shown]
	ds_read_b128 v[162:165], v159 offset:10192
	v_fma_f64 v[202:203], v[80:81], v[66:67], v[64:65]
	v_fma_f64 v[80:81], v[80:81], v[68:69], -v[82:83]
	v_fma_f64 v[196:197], v[84:85], v[70:71], v[196:197]
	v_fma_f64 v[72:73], v[84:85], v[72:73], -v[86:87]
	;; [unrolled: 2-line block ×4, first 2 shown]
	v_add_f64 v[84:85], v[172:173], v[202:203]
	v_add_f64 v[130:131], v[174:175], v[80:81]
	;; [unrolled: 1-line block ×4, first 2 shown]
	v_mul_f64 v[64:65], v[90:91], v[190:191]
	v_mul_f64 v[66:67], v[90:91], v[188:189]
	;; [unrolled: 1-line block ×4, first 2 shown]
	s_waitcnt lgkmcnt(1)
	v_mul_f64 v[90:91], v[110:111], v[76:77]
	v_add_f64 v[98:99], v[180:181], v[184:185]
	v_add_f64 v[170:171], v[84:85], v[82:83]
	v_add_f64 v[176:177], v[182:183], v[186:187]
	v_add_f64 v[178:179], v[130:131], v[86:87]
	v_mul_f64 v[110:111], v[110:111], v[74:75]
	v_fma_f64 v[188:189], v[88:89], v[188:189], v[64:65]
	v_fma_f64 v[190:191], v[88:89], v[190:191], -v[66:67]
	v_fma_f64 v[192:193], v[96:97], v[192:193], v[68:69]
	v_fma_f64 v[194:195], v[96:97], v[194:195], -v[70:71]
	v_add_f64 v[88:89], v[98:99], v[170:171]
	v_fma_f64 v[170:171], v[108:109], v[74:75], v[90:91]
	v_add_f64 v[74:75], v[176:177], v[178:179]
	v_fma_f64 v[108:109], v[108:109], v[76:77], -v[110:111]
	v_add_f64 v[80:81], v[174:175], -v[80:81]
	v_add_f64 v[96:97], v[186:187], -v[182:183]
	;; [unrolled: 1-line block ×5, first 2 shown]
	ds_read_b128 v[64:67], v159
	ds_read_b128 v[68:71], v159 offset:784
	s_waitcnt lgkmcnt(2)
	v_mul_f64 v[76:77], v[62:63], v[164:165]
	v_mul_f64 v[90:91], v[62:63], v[162:163]
	v_add_f64 v[172:173], v[176:177], -v[130:131]
	s_waitcnt lgkmcnt(1)
	v_add_f64 v[62:63], v[64:65], v[88:89]
	v_add_f64 v[64:65], v[66:67], v[74:75]
	v_add_f64 v[66:67], v[157:158], -v[196:197]
	v_add_f64 v[157:158], v[98:99], -v[84:85]
	;; [unrolled: 1-line block ×6, first 2 shown]
	v_add_f64 v[178:179], v[96:97], v[80:81]
	v_add_f64 v[80:81], v[80:81], -v[72:73]
	v_mul_f64 v[184:185], v[172:173], s[6:7]
	v_mul_f64 v[182:183], v[157:158], s[6:7]
	;; [unrolled: 1-line block ×3, first 2 shown]
	v_add_f64 v[186:187], v[110:111], v[78:79]
	v_fma_f64 v[196:197], v[74:75], s[26:27], v[64:65]
	v_add_f64 v[74:75], v[78:79], -v[66:67]
	v_mul_f64 v[180:181], v[180:181], s[24:25]
	v_add_f64 v[82:83], v[82:83], -v[98:99]
	v_add_f64 v[86:87], v[86:87], -v[176:177]
	v_fma_f64 v[78:79], v[84:85], s[28:29], -v[182:183]
	v_fma_f64 v[182:183], v[130:131], s[28:29], -v[184:185]
	v_add_f64 v[98:99], v[186:187], v[66:67]
	v_add_f64 v[176:177], v[178:179], v[72:73]
	v_fma_f64 v[178:179], v[80:81], s[22:23], -v[174:175]
	v_fma_f64 v[184:185], v[74:75], s[22:23], -v[180:181]
	v_add_f64 v[66:67], v[66:67], -v[110:111]
	v_add_f64 v[96:97], v[72:73], -v[96:97]
	v_mul_f64 v[82:83], v[82:83], s[18:19]
	v_mul_f64 v[86:87], v[86:87], s[18:19]
	;; [unrolled: 1-line block ×4, first 2 shown]
	v_fma_f64 v[88:89], v[88:89], s[26:27], v[62:63]
	v_add_f64 v[80:81], v[182:183], v[196:197]
	v_fma_f64 v[110:111], v[176:177], s[8:9], v[178:179]
	v_fma_f64 v[178:179], v[98:99], s[8:9], v[184:185]
	v_fma_f64 v[84:85], v[84:85], s[16:17], -v[82:83]
	v_fma_f64 v[130:131], v[130:131], s[16:17], -v[86:87]
	v_fma_f64 v[182:183], v[96:97], s[20:21], v[72:73]
	v_fma_f64 v[184:185], v[66:67], s[20:21], v[74:75]
	v_fma_f64 v[162:163], v[60:61], v[162:163], v[76:77]
	v_add_f64 v[78:79], v[78:79], v[88:89]
	v_fma_f64 v[164:165], v[60:61], v[164:165], -v[90:91]
	v_fma_f64 v[157:158], v[157:158], s[6:7], v[82:83]
	v_add_f64 v[60:61], v[84:85], v[88:89]
	v_add_f64 v[90:91], v[130:131], v[196:197]
	v_fma_f64 v[84:85], v[176:177], s[8:9], v[182:183]
	v_fma_f64 v[130:131], v[98:99], s[8:9], v[184:185]
	;; [unrolled: 1-line block ×5, first 2 shown]
	v_add_f64 v[172:173], v[168:169], v[162:163]
	v_add_f64 v[174:175], v[114:115], v[170:171]
	v_add_f64 v[72:73], v[78:79], -v[110:111]
	v_add_f64 v[74:75], v[178:179], v[80:81]
	v_add_f64 v[76:77], v[110:111], v[78:79]
	v_add_f64 v[78:79], v[80:81], -v[178:179]
	v_add_f64 v[80:81], v[84:85], v[60:61]
	v_add_f64 v[82:83], v[90:91], -v[130:131]
	v_add_f64 v[110:111], v[157:158], v[88:89]
	v_add_f64 v[157:158], v[86:87], v[196:197]
	v_fma_f64 v[66:67], v[98:99], s[8:9], v[66:67]
	v_add_f64 v[84:85], v[60:61], -v[84:85]
	v_add_f64 v[86:87], v[130:131], v[90:91]
	v_add_f64 v[130:131], v[188:189], v[192:193]
	v_add_f64 v[60:61], v[174:175], v[172:173]
	v_fma_f64 v[96:97], v[176:177], s[8:9], v[96:97]
	v_add_f64 v[176:177], v[112:113], v[164:165]
	v_add_f64 v[178:179], v[128:129], v[108:109]
	v_add_f64 v[90:91], v[157:158], -v[66:67]
	v_add_f64 v[98:99], v[66:67], v[157:158]
	v_add_f64 v[180:181], v[190:191], v[194:195]
	s_waitcnt lgkmcnt(0)
	v_add_f64 v[66:67], v[130:131], v[60:61]
	v_add_f64 v[88:89], v[96:97], v[110:111]
	; wave barrier
	v_add_f64 v[182:183], v[178:179], v[176:177]
	ds_write_b128 v166, v[62:65]
	ds_write_b128 v166, v[88:91] offset:112
	ds_write_b128 v166, v[80:83] offset:224
	;; [unrolled: 1-line block ×5, first 2 shown]
	v_add_f64 v[60:61], v[68:69], v[66:67]
	v_add_f64 v[68:69], v[128:129], -v[108:109]
	v_add_f64 v[72:73], v[194:195], -v[190:191]
	v_add_f64 v[64:65], v[180:181], v[182:183]
	v_add_f64 v[76:77], v[114:115], -v[170:171]
	v_add_f64 v[78:79], v[192:193], -v[188:189]
	;; [unrolled: 1-line block ×7, first 2 shown]
	v_add_f64 v[62:63], v[70:71], v[64:65]
	v_add_f64 v[70:71], v[168:169], -v[162:163]
	v_add_f64 v[108:109], v[78:79], -v[76:77]
	v_add_f64 v[90:91], v[72:73], v[68:69]
	v_add_f64 v[68:69], v[68:69], -v[74:75]
	v_add_f64 v[114:115], v[78:79], v[76:77]
	v_add_f64 v[82:83], v[180:181], -v[178:179]
	v_mul_f64 v[84:85], v[84:85], s[24:25]
	v_add_f64 v[86:87], v[174:175], -v[172:173]
	v_add_f64 v[76:77], v[76:77], -v[70:71]
	v_mul_f64 v[108:109], v[108:109], s[24:25]
	v_add_f64 v[90:91], v[90:91], v[74:75]
	v_add_f64 v[72:73], v[74:75], -v[72:73]
	v_add_f64 v[114:115], v[114:115], v[70:71]
	v_mul_f64 v[74:75], v[128:129], s[18:19]
	v_fma_f64 v[157:158], v[68:69], s[22:23], -v[84:85]
	v_mul_f64 v[128:129], v[130:131], s[18:19]
	v_mul_f64 v[68:69], v[68:69], s[14:15]
	v_add_f64 v[70:71], v[70:71], -v[78:79]
	v_add_f64 v[96:97], v[110:111], -v[96:97]
	;; [unrolled: 1-line block ×3, first 2 shown]
	v_mul_f64 v[110:111], v[80:81], s[6:7]
	v_fma_f64 v[162:163], v[76:77], s[22:23], -v[108:109]
	v_mul_f64 v[76:77], v[76:77], s[14:15]
	v_mul_f64 v[112:113], v[82:83], s[6:7]
	v_fma_f64 v[66:67], v[66:67], s[26:27], v[60:61]
	v_fma_f64 v[64:65], v[64:65], s[26:27], v[62:63]
	v_fma_f64 v[78:79], v[86:87], s[16:17], -v[74:75]
	v_fma_f64 v[68:69], v[72:73], s[20:21], v[68:69]
	v_fma_f64 v[74:75], v[80:81], s[6:7], v[74:75]
	;; [unrolled: 1-line block ×5, first 2 shown]
	v_fma_f64 v[110:111], v[86:87], s[28:29], -v[110:111]
	v_fma_f64 v[86:87], v[88:89], s[16:17], -v[128:129]
	v_fma_f64 v[70:71], v[70:71], s[20:21], v[76:77]
	v_fma_f64 v[112:113], v[88:89], s[28:29], -v[112:113]
	v_fma_f64 v[130:131], v[90:91], s[8:9], v[157:158]
	v_fma_f64 v[157:158], v[114:115], s[8:9], v[162:163]
	;; [unrolled: 1-line block ×3, first 2 shown]
	v_add_f64 v[108:109], v[74:75], v[66:67]
	v_add_f64 v[128:129], v[80:81], v[64:65]
	v_fma_f64 v[90:91], v[90:91], s[8:9], v[72:73]
	v_fma_f64 v[162:163], v[114:115], s[8:9], v[82:83]
	v_add_f64 v[84:85], v[78:79], v[66:67]
	v_add_f64 v[86:87], v[86:87], v[64:65]
	v_fma_f64 v[82:83], v[114:115], s[8:9], v[70:71]
	v_add_f64 v[110:111], v[110:111], v[66:67]
	v_add_f64 v[112:113], v[112:113], v[64:65]
	;; [unrolled: 1-line block ×3, first 2 shown]
	v_add_f64 v[78:79], v[128:129], -v[162:163]
	v_add_f64 v[72:73], v[88:89], v[84:85]
	v_add_f64 v[80:81], v[84:85], -v[88:89]
	v_add_f64 v[74:75], v[86:87], -v[82:83]
	;; [unrolled: 1-line block ×3, first 2 shown]
	v_add_f64 v[66:67], v[157:158], v[112:113]
	v_add_f64 v[68:69], v[130:131], v[110:111]
	v_add_f64 v[70:71], v[112:113], -v[157:158]
	v_add_f64 v[82:83], v[82:83], v[86:87]
	v_add_f64 v[84:85], v[108:109], -v[90:91]
	v_add_f64 v[86:87], v[162:163], v[128:129]
	ds_write_b128 v166, v[96:99] offset:672
	ds_write_b128 v167, v[60:63]
	ds_write_b128 v167, v[76:79] offset:112
	ds_write_b128 v167, v[72:75] offset:224
	;; [unrolled: 1-line block ×6, first 2 shown]
	s_waitcnt lgkmcnt(0)
	; wave barrier
	s_waitcnt lgkmcnt(0)
	ds_read_b128 v[60:63], v159 offset:1568
	ds_read_b128 v[64:67], v159 offset:2352
	;; [unrolled: 1-line block ×4, first 2 shown]
	s_waitcnt lgkmcnt(3)
	v_mul_f64 v[76:77], v[146:147], v[62:63]
	v_mul_f64 v[78:79], v[146:147], v[60:61]
	s_waitcnt lgkmcnt(2)
	v_mul_f64 v[80:81], v[146:147], v[66:67]
	v_mul_f64 v[82:83], v[146:147], v[64:65]
	;; [unrolled: 3-line block ×3, first 2 shown]
	v_fma_f64 v[108:109], v[144:145], v[60:61], v[76:77]
	v_fma_f64 v[110:111], v[144:145], v[62:63], -v[78:79]
	v_fma_f64 v[112:113], v[144:145], v[64:65], v[80:81]
	v_fma_f64 v[114:115], v[144:145], v[66:67], -v[82:83]
	;; [unrolled: 2-line block ×3, first 2 shown]
	ds_read_b128 v[60:63], v159 offset:4704
	ds_read_b128 v[64:67], v159 offset:7840
	;; [unrolled: 1-line block ×6, first 2 shown]
	s_waitcnt lgkmcnt(4)
	v_mul_f64 v[157:158], v[122:123], v[66:67]
	v_mul_f64 v[146:147], v[94:95], v[62:63]
	s_waitcnt lgkmcnt(2)
	v_mul_f64 v[162:163], v[58:59], v[78:79]
	v_mul_f64 v[144:145], v[106:107], v[74:75]
	;; [unrolled: 1-line block ×6, first 2 shown]
	s_waitcnt lgkmcnt(1)
	v_mul_f64 v[170:171], v[102:103], v[90:91]
	v_mul_f64 v[172:173], v[102:103], v[88:89]
	v_fma_f64 v[76:77], v[56:57], v[76:77], v[162:163]
	v_fma_f64 v[157:158], v[120:121], v[64:65], v[157:158]
	;; [unrolled: 1-line block ×3, first 2 shown]
	v_mul_f64 v[60:61], v[94:95], v[70:71]
	v_fma_f64 v[78:79], v[56:57], v[78:79], -v[164:165]
	v_fma_f64 v[162:163], v[120:121], v[66:67], -v[166:167]
	;; [unrolled: 1-line block ×3, first 2 shown]
	v_fma_f64 v[88:89], v[100:101], v[88:89], v[170:171]
	v_fma_f64 v[90:91], v[100:101], v[90:91], -v[172:173]
	v_add_f64 v[166:167], v[108:109], v[76:77]
	v_add_f64 v[168:169], v[128:129], v[157:158]
	v_fma_f64 v[144:145], v[104:105], v[72:73], v[144:145]
	v_fma_f64 v[104:105], v[104:105], v[74:75], -v[106:107]
	v_mul_f64 v[62:63], v[94:95], v[68:69]
	s_waitcnt lgkmcnt(0)
	v_mul_f64 v[94:95], v[102:103], v[98:99]
	v_fma_f64 v[106:107], v[92:93], v[68:69], v[60:61]
	v_mul_f64 v[68:69], v[102:103], v[96:97]
	ds_read_b128 v[80:83], v159 offset:8624
	ds_read_b128 v[84:87], v159 offset:10192
	v_add_f64 v[170:171], v[110:111], v[78:79]
	v_add_f64 v[172:173], v[130:131], v[162:163]
	;; [unrolled: 1-line block ×5, first 2 shown]
	s_waitcnt lgkmcnt(1)
	v_mul_f64 v[102:103], v[122:123], v[82:83]
	v_fma_f64 v[94:95], v[100:101], v[96:97], v[94:95]
	v_fma_f64 v[96:97], v[100:101], v[98:99], -v[68:69]
	v_add_f64 v[68:69], v[130:131], -v[162:163]
	v_add_f64 v[90:91], v[90:91], -v[164:165]
	v_add_f64 v[66:67], v[172:173], v[170:171]
	v_mul_f64 v[122:123], v[122:123], v[80:81]
	v_fma_f64 v[92:93], v[92:93], v[70:71], -v[62:63]
	v_add_f64 v[70:71], v[72:73], v[64:65]
	v_fma_f64 v[80:81], v[120:121], v[80:81], v[102:103]
	v_add_f64 v[78:79], v[110:111], -v[78:79]
	v_add_f64 v[98:99], v[128:129], -v[157:158]
	;; [unrolled: 1-line block ×6, first 2 shown]
	ds_read_b128 v[60:63], v159
	v_add_f64 v[174:175], v[74:75], v[66:67]
	ds_read_b128 v[64:67], v159 offset:784
	v_fma_f64 v[82:83], v[120:121], v[82:83], -v[122:123]
	v_add_f64 v[76:77], v[108:109], -v[76:77]
	s_waitcnt lgkmcnt(1)
	v_add_f64 v[60:61], v[60:61], v[70:71]
	v_add_f64 v[108:109], v[168:169], -v[166:167]
	v_add_f64 v[120:121], v[172:173], -v[170:171]
	v_add_f64 v[122:123], v[90:91], v[68:69]
	v_add_f64 v[68:69], v[68:69], -v[78:79]
	v_add_f64 v[128:129], v[88:89], -v[98:99]
	v_mul_f64 v[130:131], v[100:101], s[6:7]
	v_mul_f64 v[146:147], v[102:103], s[6:7]
	v_add_f64 v[157:158], v[88:89], v[98:99]
	v_mul_f64 v[110:111], v[110:111], s[24:25]
	v_add_f64 v[62:63], v[62:63], v[174:175]
	v_fma_f64 v[162:163], v[70:71], s[26:27], v[60:61]
	v_add_f64 v[70:71], v[98:99], -v[76:77]
	v_mul_f64 v[98:99], v[128:129], s[24:25]
	v_fma_f64 v[128:129], v[108:109], s[28:29], -v[130:131]
	v_fma_f64 v[130:131], v[120:121], s[28:29], -v[146:147]
	v_add_f64 v[146:147], v[157:158], v[76:77]
	v_add_f64 v[122:123], v[122:123], v[78:79]
	v_add_f64 v[72:73], v[166:167], -v[72:73]
	v_add_f64 v[74:75], v[170:171], -v[74:75]
	v_fma_f64 v[157:158], v[68:69], s[22:23], -v[110:111]
	v_mul_f64 v[168:169], v[58:59], v[86:87]
	v_mul_f64 v[58:59], v[58:59], v[84:85]
	v_add_f64 v[78:79], v[78:79], -v[90:91]
	v_mul_f64 v[68:69], v[68:69], s[14:15]
	v_fma_f64 v[164:165], v[174:175], s[26:27], v[62:63]
	v_fma_f64 v[166:167], v[70:71], s[22:23], -v[98:99]
	v_add_f64 v[128:129], v[128:129], v[162:163]
	v_mul_f64 v[170:171], v[72:73], s[18:19]
	v_mul_f64 v[172:173], v[74:75], s[18:19]
	v_fma_f64 v[72:73], v[122:123], s[8:9], v[157:158]
	v_add_f64 v[76:77], v[76:77], -v[88:89]
	v_mul_f64 v[70:71], v[70:71], s[14:15]
	v_fma_f64 v[84:85], v[56:57], v[84:85], v[168:169]
	v_fma_f64 v[86:87], v[56:57], v[86:87], -v[58:59]
	v_fma_f64 v[68:69], v[78:79], s[20:21], v[68:69]
	v_add_f64 v[130:131], v[130:131], v[164:165]
	v_fma_f64 v[74:75], v[146:147], s[8:9], v[166:167]
	v_fma_f64 v[88:89], v[108:109], s[16:17], -v[170:171]
	v_fma_f64 v[90:91], v[120:121], s[16:17], -v[172:173]
	v_add_f64 v[56:57], v[128:129], -v[72:73]
	v_fma_f64 v[70:71], v[76:77], s[20:21], v[70:71]
	v_add_f64 v[108:109], v[112:113], v[84:85]
	v_add_f64 v[120:121], v[144:145], v[80:81]
	;; [unrolled: 1-line block ×4, first 2 shown]
	v_fma_f64 v[168:169], v[122:123], s[8:9], v[68:69]
	v_add_f64 v[68:69], v[72:73], v[128:129]
	v_add_f64 v[128:129], v[106:107], v[94:95]
	;; [unrolled: 1-line block ×3, first 2 shown]
	v_add_f64 v[82:83], v[104:105], -v[82:83]
	v_add_f64 v[92:93], v[96:97], -v[92:93]
	;; [unrolled: 1-line block ×4, first 2 shown]
	v_add_f64 v[58:59], v[74:75], v[130:131]
	v_add_f64 v[90:91], v[90:91], v[164:165]
	v_fma_f64 v[174:175], v[146:147], s[8:9], v[70:71]
	v_add_f64 v[70:71], v[130:131], -v[74:75]
	v_add_f64 v[130:131], v[120:121], v[108:109]
	v_add_f64 v[178:179], v[166:167], v[157:158]
	v_fma_f64 v[102:103], v[102:103], s[6:7], v[172:173]
	v_fma_f64 v[98:99], v[76:77], s[12:13], v[98:99]
	v_add_f64 v[84:85], v[112:113], -v[84:85]
	v_add_f64 v[86:87], v[114:115], -v[86:87]
	;; [unrolled: 1-line block ×4, first 2 shown]
	v_add_f64 v[88:89], v[88:89], v[162:163]
	v_add_f64 v[74:75], v[90:91], -v[174:175]
	v_fma_f64 v[100:101], v[100:101], s[6:7], v[170:171]
	v_fma_f64 v[110:111], v[78:79], s[12:13], v[110:111]
	v_add_f64 v[130:131], v[128:129], v[130:131]
	v_add_f64 v[170:171], v[176:177], v[178:179]
	v_add_f64 v[78:79], v[174:175], v[90:91]
	v_add_f64 v[90:91], v[102:103], v[164:165]
	v_fma_f64 v[98:99], v[146:147], s[8:9], v[98:99]
	v_add_f64 v[96:97], v[128:129], -v[120:121]
	v_add_f64 v[102:103], v[176:177], -v[166:167]
	v_add_f64 v[104:105], v[120:121], -v[108:109]
	v_add_f64 v[120:121], v[82:83], -v[86:87]
	v_mul_f64 v[106:107], v[106:107], s[24:25]
	v_add_f64 v[146:147], v[80:81], -v[84:85]
	v_mul_f64 v[112:113], v[112:113], s[24:25]
	v_add_f64 v[108:109], v[108:109], -v[128:129]
	v_add_f64 v[128:129], v[157:158], -v[176:177]
	v_add_f64 v[72:73], v[168:169], v[88:89]
	v_add_f64 v[76:77], v[88:89], -v[168:169]
	v_add_f64 v[88:89], v[100:101], v[162:163]
	v_fma_f64 v[100:101], v[122:123], s[8:9], v[110:111]
	s_waitcnt lgkmcnt(0)
	v_add_f64 v[64:65], v[64:65], v[130:131]
	v_add_f64 v[66:67], v[66:67], v[170:171]
	v_add_f64 v[110:111], v[166:167], -v[157:158]
	v_add_f64 v[114:115], v[92:93], v[82:83]
	v_mul_f64 v[82:83], v[96:97], s[6:7]
	v_mul_f64 v[122:123], v[102:103], s[6:7]
	v_add_f64 v[144:145], v[94:95], v[80:81]
	v_fma_f64 v[166:167], v[120:121], s[22:23], -v[106:107]
	v_fma_f64 v[168:169], v[146:147], s[22:23], -v[112:113]
	v_add_f64 v[94:95], v[84:85], -v[94:95]
	v_add_f64 v[92:93], v[86:87], -v[92:93]
	v_mul_f64 v[108:109], v[108:109], s[18:19]
	v_mul_f64 v[128:129], v[128:129], s[18:19]
	;; [unrolled: 1-line block ×4, first 2 shown]
	v_fma_f64 v[130:131], v[130:131], s[26:27], v[64:65]
	v_fma_f64 v[162:163], v[170:171], s[26:27], v[66:67]
	v_fma_f64 v[164:165], v[104:105], s[28:29], -v[82:83]
	v_fma_f64 v[122:123], v[110:111], s[28:29], -v[122:123]
	v_add_f64 v[144:145], v[144:145], v[84:85]
	v_add_f64 v[114:115], v[114:115], v[86:87]
	;; [unrolled: 1-line block ×3, first 2 shown]
	v_add_f64 v[82:83], v[90:91], -v[98:99]
	v_add_f64 v[84:85], v[88:89], -v[100:101]
	v_add_f64 v[86:87], v[98:99], v[90:91]
	v_fma_f64 v[98:99], v[104:105], s[16:17], -v[108:109]
	v_fma_f64 v[100:101], v[110:111], s[16:17], -v[128:129]
	v_fma_f64 v[104:105], v[92:93], s[20:21], v[120:121]
	v_fma_f64 v[110:111], v[94:95], s[20:21], v[146:147]
	v_fma_f64 v[96:97], v[96:97], s[6:7], v[108:109]
	v_fma_f64 v[102:103], v[102:103], s[6:7], v[128:129]
	v_fma_f64 v[92:93], v[92:93], s[12:13], v[106:107]
	v_fma_f64 v[94:95], v[94:95], s[12:13], v[112:113]
	v_add_f64 v[157:158], v[164:165], v[130:131]
	v_add_f64 v[122:123], v[122:123], v[162:163]
	v_fma_f64 v[164:165], v[114:115], s[8:9], v[166:167]
	v_fma_f64 v[166:167], v[144:145], s[8:9], v[168:169]
	v_add_f64 v[106:107], v[98:99], v[130:131]
	v_add_f64 v[108:109], v[100:101], v[162:163]
	v_fma_f64 v[100:101], v[114:115], s[8:9], v[104:105]
	v_fma_f64 v[104:105], v[144:145], s[8:9], v[110:111]
	;; [unrolled: 4-line block ×3, first 2 shown]
	v_add_f64 v[88:89], v[157:158], -v[164:165]
	v_add_f64 v[90:91], v[166:167], v[122:123]
	v_add_f64 v[92:93], v[164:165], v[157:158]
	v_add_f64 v[94:95], v[122:123], -v[166:167]
	v_add_f64 v[96:97], v[100:101], v[106:107]
	v_add_f64 v[98:99], v[108:109], -v[104:105]
	v_add_f64 v[100:101], v[106:107], -v[100:101]
	v_add_f64 v[102:103], v[104:105], v[108:109]
	v_add_f64 v[104:105], v[114:115], v[110:111]
	v_add_f64 v[106:107], v[112:113], -v[120:121]
	v_add_f64 v[108:109], v[110:111], -v[114:115]
	v_add_f64 v[110:111], v[120:121], v[112:113]
	s_waitcnt lgkmcnt(0)
	; wave barrier
	ds_write_b128 v159, v[60:63]
	ds_write_b128 v159, v[80:83] offset:784
	ds_write_b128 v159, v[72:75] offset:1568
	;; [unrolled: 1-line block ×13, first 2 shown]
	s_waitcnt lgkmcnt(0)
	; wave barrier
	s_waitcnt lgkmcnt(0)
	ds_read_b128 v[56:59], v159 offset:5488
	ds_read_b128 v[60:63], v159 offset:4704
	;; [unrolled: 1-line block ×4, first 2 shown]
	s_waitcnt lgkmcnt(3)
	v_mul_f64 v[72:73], v[118:119], v[58:59]
	v_mul_f64 v[74:75], v[118:119], v[56:57]
	s_waitcnt lgkmcnt(1)
	v_mul_f64 v[76:77], v[126:127], v[66:67]
	v_mul_f64 v[78:79], v[126:127], v[64:65]
	s_waitcnt lgkmcnt(0)
	v_mul_f64 v[84:85], v[134:135], v[70:71]
	v_fma_f64 v[80:81], v[116:117], v[56:57], v[72:73]
	v_fma_f64 v[82:83], v[116:117], v[58:59], -v[74:75]
	ds_read_b128 v[56:59], v159 offset:7840
	ds_read_b128 v[72:75], v159 offset:8624
	v_fma_f64 v[86:87], v[124:125], v[64:65], v[76:77]
	v_mul_f64 v[76:77], v[134:135], v[68:69]
	v_fma_f64 v[88:89], v[124:125], v[66:67], -v[78:79]
	s_waitcnt lgkmcnt(1)
	v_mul_f64 v[78:79], v[138:139], v[58:59]
	v_mul_f64 v[90:91], v[138:139], v[56:57]
	s_waitcnt lgkmcnt(0)
	v_mul_f64 v[92:93], v[142:143], v[74:75]
	ds_read_b128 v[64:67], v159 offset:9408
	v_fma_f64 v[84:85], v[132:133], v[68:69], v[84:85]
	v_mul_f64 v[94:95], v[142:143], v[72:73]
	v_fma_f64 v[96:97], v[132:133], v[70:71], -v[76:77]
	ds_read_b128 v[68:71], v159 offset:10192
	v_fma_f64 v[98:99], v[136:137], v[56:57], v[78:79]
	s_waitcnt lgkmcnt(1)
	v_mul_f64 v[76:77], v[150:151], v[66:67]
	v_mul_f64 v[78:79], v[150:151], v[64:65]
	v_fma_f64 v[100:101], v[136:137], v[58:59], -v[90:91]
	v_fma_f64 v[102:103], v[140:141], v[72:73], v[92:93]
	s_waitcnt lgkmcnt(0)
	v_mul_f64 v[90:91], v[154:155], v[70:71]
	v_mul_f64 v[92:93], v[154:155], v[68:69]
	v_fma_f64 v[104:105], v[140:141], v[74:75], -v[94:95]
	ds_read_b128 v[56:59], v159
	ds_read_b128 v[72:75], v159 offset:784
	v_fma_f64 v[106:107], v[148:149], v[64:65], v[76:77]
	v_fma_f64 v[108:109], v[148:149], v[66:67], -v[78:79]
	ds_read_b128 v[64:67], v159 offset:1568
	ds_read_b128 v[76:79], v159 offset:2352
	v_fma_f64 v[110:111], v[152:153], v[68:69], v[90:91]
	v_fma_f64 v[112:113], v[152:153], v[70:71], -v[92:93]
	s_waitcnt lgkmcnt(3)
	v_add_f64 v[68:69], v[56:57], -v[80:81]
	v_add_f64 v[70:71], v[58:59], -v[82:83]
	s_waitcnt lgkmcnt(2)
	v_add_f64 v[80:81], v[72:73], -v[86:87]
	v_add_f64 v[82:83], v[74:75], -v[88:89]
	;; [unrolled: 3-line block ×3, first 2 shown]
	ds_read_b128 v[88:91], v159 offset:3136
	ds_read_b128 v[92:95], v159 offset:3920
	s_waitcnt lgkmcnt(2)
	v_add_f64 v[96:97], v[76:77], -v[98:99]
	v_add_f64 v[98:99], v[78:79], -v[100:101]
	v_fma_f64 v[56:57], v[56:57], 2.0, -v[68:69]
	s_waitcnt lgkmcnt(1)
	v_add_f64 v[100:101], v[88:89], -v[102:103]
	v_add_f64 v[102:103], v[90:91], -v[104:105]
	v_fma_f64 v[58:59], v[58:59], 2.0, -v[70:71]
	s_waitcnt lgkmcnt(0)
	v_add_f64 v[104:105], v[92:93], -v[106:107]
	v_add_f64 v[106:107], v[94:95], -v[108:109]
	;; [unrolled: 1-line block ×4, first 2 shown]
	v_fma_f64 v[72:73], v[72:73], 2.0, -v[80:81]
	v_fma_f64 v[74:75], v[74:75], 2.0, -v[82:83]
	;; [unrolled: 1-line block ×12, first 2 shown]
	ds_write_b128 v159, v[56:59]
	ds_write_b128 v159, v[68:71] offset:5488
	ds_write_b128 v159, v[72:75] offset:784
	;; [unrolled: 1-line block ×13, first 2 shown]
	s_waitcnt lgkmcnt(0)
	; wave barrier
	s_waitcnt lgkmcnt(0)
	ds_read_b128 v[56:59], v159
	ds_read_b128 v[60:63], v159 offset:784
	v_mad_u64_u32 v[112:113], s[6:7], s2, v156, 0
	v_mov_b32_e32 v74, s5
	s_waitcnt lgkmcnt(1)
	v_mul_f64 v[65:66], v[38:39], v[58:59]
	v_mul_f64 v[38:39], v[38:39], v[56:57]
	v_mov_b32_e32 v64, v113
	s_mul_hi_u32 s5, s0, 0x620
	v_fma_f64 v[56:57], v[36:37], v[56:57], v[65:66]
	v_mad_u64_u32 v[67:68], s[2:3], s3, v156, v[64:65]
	v_mad_u64_u32 v[68:69], s[2:3], s0, v160, 0
	s_mov_b32 s2, 0x515a4f1d
	v_fma_f64 v[38:39], v[36:37], v[58:59], -v[38:39]
	s_mov_b32 s3, 0x3f57e225
	v_mov_b32_e32 v36, v69
	v_mad_u64_u32 v[64:65], s[6:7], s1, v160, v[36:37]
	v_mul_f64 v[36:37], v[56:57], s[2:3]
	ds_read_b128 v[56:59], v159 offset:1568
	v_mov_b32_e32 v113, v67
	v_mov_b32_e32 v69, v64
	ds_read_b128 v[64:67], v159 offset:2352
	v_mul_f64 v[38:39], v[38:39], s[2:3]
	s_waitcnt lgkmcnt(1)
	v_mul_f64 v[72:73], v[34:35], v[58:59]
	v_mul_f64 v[34:35], v[34:35], v[56:57]
	v_lshlrev_b64 v[70:71], 4, v[112:113]
	v_lshlrev_b64 v[68:69], 4, v[68:69]
	v_add_co_u32_e32 v70, vcc, s4, v70
	v_addc_co_u32_e32 v71, vcc, v74, v71, vcc
	v_fma_f64 v[56:57], v[32:33], v[56:57], v[72:73]
	v_fma_f64 v[58:59], v[32:33], v[58:59], -v[34:35]
	ds_read_b128 v[32:35], v159 offset:3136
	v_add_co_u32_e32 v72, vcc, v70, v68
	v_addc_co_u32_e32 v73, vcc, v71, v69, vcc
	global_store_dwordx4 v[72:73], v[36:39], off
	ds_read_b128 v[68:71], v159 offset:4704
	v_mul_f64 v[36:37], v[56:57], s[2:3]
	v_mul_f64 v[38:39], v[58:59], s[2:3]
	ds_read_b128 v[56:59], v159 offset:3920
	s_waitcnt lgkmcnt(2)
	v_mul_f64 v[74:75], v[30:31], v[34:35]
	v_mul_f64 v[30:31], v[30:31], v[32:33]
	s_mul_i32 s4, s1, 0x620
	s_add_i32 s4, s5, s4
	s_mul_i32 s5, s0, 0x620
	v_mov_b32_e32 v76, s4
	v_add_co_u32_e32 v72, vcc, s5, v72
	v_fma_f64 v[32:33], v[28:29], v[32:33], v[74:75]
	v_fma_f64 v[34:35], v[28:29], v[34:35], -v[30:31]
	ds_read_b128 v[28:31], v159 offset:5488
	s_waitcnt lgkmcnt(2)
	v_mul_f64 v[74:75], v[26:27], v[70:71]
	v_mul_f64 v[26:27], v[26:27], v[68:69]
	v_addc_co_u32_e32 v73, vcc, v73, v76, vcc
	global_store_dwordx4 v[72:73], v[36:39], off
	ds_read_b128 v[36:39], v159 offset:6272
	v_mul_f64 v[32:33], v[32:33], s[2:3]
	v_mul_f64 v[34:35], v[34:35], s[2:3]
	v_fma_f64 v[68:69], v[24:25], v[68:69], v[74:75]
	v_fma_f64 v[70:71], v[24:25], v[70:71], -v[26:27]
	ds_read_b128 v[24:27], v159 offset:7056
	s_waitcnt lgkmcnt(1)
	v_mul_f64 v[74:75], v[54:55], v[38:39]
	v_mul_f64 v[54:55], v[54:55], v[36:37]
	v_add_co_u32_e32 v72, vcc, s5, v72
	v_addc_co_u32_e32 v73, vcc, v73, v76, vcc
	global_store_dwordx4 v[72:73], v[32:35], off
	v_mov_b32_e32 v78, s4
	v_mul_f64 v[32:33], v[68:69], s[2:3]
	v_mul_f64 v[34:35], v[70:71], s[2:3]
	ds_read_b128 v[68:71], v159 offset:7840
	v_fma_f64 v[74:75], v[52:53], v[36:37], v[74:75]
	v_fma_f64 v[52:53], v[52:53], v[38:39], -v[54:55]
	ds_read_b128 v[36:39], v159 offset:8624
	v_add_co_u32_e32 v72, vcc, s5, v72
	s_waitcnt lgkmcnt(1)
	v_mul_f64 v[76:77], v[2:3], v[70:71]
	v_mul_f64 v[2:3], v[2:3], v[68:69]
	v_addc_co_u32_e32 v73, vcc, v73, v78, vcc
	global_store_dwordx4 v[72:73], v[32:35], off
	v_add_co_u32_e32 v72, vcc, s5, v72
	v_mul_f64 v[34:35], v[52:53], s[2:3]
	ds_read_b128 v[52:55], v159 offset:9408
	v_mul_f64 v[32:33], v[74:75], s[2:3]
	v_fma_f64 v[68:69], v[0:1], v[68:69], v[76:77]
	v_fma_f64 v[70:71], v[0:1], v[70:71], -v[2:3]
	ds_read_b128 v[0:3], v159 offset:10192
	s_waitcnt lgkmcnt(1)
	v_mul_f64 v[74:75], v[42:43], v[54:55]
	v_mul_f64 v[42:43], v[42:43], v[52:53]
	v_addc_co_u32_e32 v73, vcc, v73, v78, vcc
	global_store_dwordx4 v[72:73], v[32:35], off
	s_mulk_i32 s1, 0xde50
	v_mul_f64 v[32:33], v[68:69], s[2:3]
	v_mul_f64 v[34:35], v[70:71], s[2:3]
	v_fma_f64 v[52:53], v[40:41], v[52:53], v[74:75]
	v_fma_f64 v[40:41], v[40:41], v[54:55], -v[42:43]
	v_mul_f64 v[42:43], v[6:7], v[62:63]
	v_mul_f64 v[6:7], v[6:7], v[60:61]
	v_mov_b32_e32 v68, s4
	v_add_co_u32_e32 v54, vcc, s5, v72
	v_addc_co_u32_e32 v55, vcc, v73, v68, vcc
	global_store_dwordx4 v[54:55], v[32:35], off
	v_fma_f64 v[6:7], v[4:5], v[62:63], -v[6:7]
	v_mul_f64 v[32:33], v[52:53], s[2:3]
	v_mul_f64 v[34:35], v[40:41], s[2:3]
	v_fma_f64 v[40:41], v[4:5], v[60:61], v[42:43]
	v_mul_f64 v[42:43], v[10:11], v[66:67]
	v_mul_f64 v[10:11], v[10:11], v[64:65]
	v_mov_b32_e32 v53, s4
	v_add_co_u32_e32 v52, vcc, s5, v54
	v_addc_co_u32_e32 v53, vcc, v55, v53, vcc
	global_store_dwordx4 v[52:53], v[32:35], off
	v_mul_f64 v[4:5], v[40:41], s[2:3]
	v_mul_f64 v[6:7], v[6:7], s[2:3]
	v_fma_f64 v[34:35], v[8:9], v[64:65], v[42:43]
	v_fma_f64 v[8:9], v[8:9], v[66:67], -v[10:11]
	v_mul_f64 v[10:11], v[14:15], v[58:59]
	v_mul_f64 v[14:15], v[14:15], v[56:57]
	v_mad_u64_u32 v[32:33], s[6:7], s0, v161, v[52:53]
	s_sub_i32 s0, s1, s0
	v_add_u32_e32 v33, s0, v33
	global_store_dwordx4 v[32:33], v[4:7], off
	s_nop 0
	v_mul_f64 v[4:5], v[34:35], s[2:3]
	v_mul_f64 v[6:7], v[8:9], s[2:3]
	v_fma_f64 v[8:9], v[12:13], v[56:57], v[10:11]
	v_fma_f64 v[10:11], v[12:13], v[58:59], -v[14:15]
	v_mul_f64 v[12:13], v[22:23], v[30:31]
	v_mul_f64 v[14:15], v[22:23], v[28:29]
	v_mov_b32_e32 v34, s4
	v_add_co_u32_e32 v22, vcc, s5, v32
	v_addc_co_u32_e32 v23, vcc, v33, v34, vcc
	global_store_dwordx4 v[22:23], v[4:7], off
	v_mov_b32_e32 v32, s4
	v_mul_f64 v[4:5], v[8:9], s[2:3]
	v_mul_f64 v[6:7], v[10:11], s[2:3]
	v_fma_f64 v[8:9], v[20:21], v[28:29], v[12:13]
	v_fma_f64 v[10:11], v[20:21], v[30:31], -v[14:15]
	v_mul_f64 v[12:13], v[18:19], v[26:27]
	v_mul_f64 v[14:15], v[18:19], v[24:25]
	v_add_co_u32_e32 v18, vcc, s5, v22
	v_addc_co_u32_e32 v19, vcc, v23, v32, vcc
	global_store_dwordx4 v[18:19], v[4:7], off
	v_mov_b32_e32 v20, s4
	v_mul_f64 v[4:5], v[8:9], s[2:3]
	v_mul_f64 v[6:7], v[10:11], s[2:3]
	v_fma_f64 v[8:9], v[16:17], v[24:25], v[12:13]
	v_fma_f64 v[10:11], v[16:17], v[26:27], -v[14:15]
	v_mul_f64 v[14:15], v[46:47], v[38:39]
	v_mul_f64 v[16:17], v[46:47], v[36:37]
	v_add_co_u32_e32 v12, vcc, s5, v18
	v_addc_co_u32_e32 v13, vcc, v19, v20, vcc
	s_waitcnt lgkmcnt(0)
	v_mul_f64 v[18:19], v[50:51], v[2:3]
	v_mul_f64 v[20:21], v[50:51], v[0:1]
	global_store_dwordx4 v[12:13], v[4:7], off
	v_mov_b32_e32 v22, s4
	v_mul_f64 v[4:5], v[8:9], s[2:3]
	v_mul_f64 v[6:7], v[10:11], s[2:3]
	v_fma_f64 v[8:9], v[44:45], v[36:37], v[14:15]
	v_fma_f64 v[10:11], v[44:45], v[38:39], -v[16:17]
	v_fma_f64 v[14:15], v[48:49], v[0:1], v[18:19]
	v_fma_f64 v[16:17], v[48:49], v[2:3], -v[20:21]
	v_add_co_u32_e32 v12, vcc, s5, v12
	v_addc_co_u32_e32 v13, vcc, v13, v22, vcc
	v_mul_f64 v[0:1], v[8:9], s[2:3]
	v_mul_f64 v[2:3], v[10:11], s[2:3]
	global_store_dwordx4 v[12:13], v[4:7], off
	v_mov_b32_e32 v9, s4
	v_mul_f64 v[4:5], v[14:15], s[2:3]
	v_mul_f64 v[6:7], v[16:17], s[2:3]
	v_add_co_u32_e32 v8, vcc, s5, v12
	v_addc_co_u32_e32 v9, vcc, v13, v9, vcc
	global_store_dwordx4 v[8:9], v[0:3], off
	s_nop 0
	v_mov_b32_e32 v1, s4
	v_add_co_u32_e32 v0, vcc, s5, v8
	v_addc_co_u32_e32 v1, vcc, v9, v1, vcc
	global_store_dwordx4 v[0:1], v[4:7], off
.LBB0_2:
	s_endpgm
	.section	.rodata,"a",@progbits
	.p2align	6, 0x0
	.amdhsa_kernel bluestein_single_fwd_len686_dim1_dp_op_CI_CI
		.amdhsa_group_segment_fixed_size 10976
		.amdhsa_private_segment_fixed_size 0
		.amdhsa_kernarg_size 104
		.amdhsa_user_sgpr_count 6
		.amdhsa_user_sgpr_private_segment_buffer 1
		.amdhsa_user_sgpr_dispatch_ptr 0
		.amdhsa_user_sgpr_queue_ptr 0
		.amdhsa_user_sgpr_kernarg_segment_ptr 1
		.amdhsa_user_sgpr_dispatch_id 0
		.amdhsa_user_sgpr_flat_scratch_init 0
		.amdhsa_user_sgpr_private_segment_size 0
		.amdhsa_uses_dynamic_stack 0
		.amdhsa_system_sgpr_private_segment_wavefront_offset 0
		.amdhsa_system_sgpr_workgroup_id_x 1
		.amdhsa_system_sgpr_workgroup_id_y 0
		.amdhsa_system_sgpr_workgroup_id_z 0
		.amdhsa_system_sgpr_workgroup_info 0
		.amdhsa_system_vgpr_workitem_id 0
		.amdhsa_next_free_vgpr 256
		.amdhsa_next_free_sgpr 34
		.amdhsa_reserve_vcc 1
		.amdhsa_reserve_flat_scratch 0
		.amdhsa_float_round_mode_32 0
		.amdhsa_float_round_mode_16_64 0
		.amdhsa_float_denorm_mode_32 3
		.amdhsa_float_denorm_mode_16_64 3
		.amdhsa_dx10_clamp 1
		.amdhsa_ieee_mode 1
		.amdhsa_fp16_overflow 0
		.amdhsa_exception_fp_ieee_invalid_op 0
		.amdhsa_exception_fp_denorm_src 0
		.amdhsa_exception_fp_ieee_div_zero 0
		.amdhsa_exception_fp_ieee_overflow 0
		.amdhsa_exception_fp_ieee_underflow 0
		.amdhsa_exception_fp_ieee_inexact 0
		.amdhsa_exception_int_div_zero 0
	.end_amdhsa_kernel
	.text
.Lfunc_end0:
	.size	bluestein_single_fwd_len686_dim1_dp_op_CI_CI, .Lfunc_end0-bluestein_single_fwd_len686_dim1_dp_op_CI_CI
                                        ; -- End function
	.section	.AMDGPU.csdata,"",@progbits
; Kernel info:
; codeLenInByte = 16264
; NumSgprs: 38
; NumVgprs: 256
; ScratchSize: 0
; MemoryBound: 0
; FloatMode: 240
; IeeeMode: 1
; LDSByteSize: 10976 bytes/workgroup (compile time only)
; SGPRBlocks: 4
; VGPRBlocks: 63
; NumSGPRsForWavesPerEU: 38
; NumVGPRsForWavesPerEU: 256
; Occupancy: 1
; WaveLimiterHint : 1
; COMPUTE_PGM_RSRC2:SCRATCH_EN: 0
; COMPUTE_PGM_RSRC2:USER_SGPR: 6
; COMPUTE_PGM_RSRC2:TRAP_HANDLER: 0
; COMPUTE_PGM_RSRC2:TGID_X_EN: 1
; COMPUTE_PGM_RSRC2:TGID_Y_EN: 0
; COMPUTE_PGM_RSRC2:TGID_Z_EN: 0
; COMPUTE_PGM_RSRC2:TIDIG_COMP_CNT: 0
	.type	__hip_cuid_86b50f8844984355,@object ; @__hip_cuid_86b50f8844984355
	.section	.bss,"aw",@nobits
	.globl	__hip_cuid_86b50f8844984355
__hip_cuid_86b50f8844984355:
	.byte	0                               ; 0x0
	.size	__hip_cuid_86b50f8844984355, 1

	.ident	"AMD clang version 19.0.0git (https://github.com/RadeonOpenCompute/llvm-project roc-6.4.0 25133 c7fe45cf4b819c5991fe208aaa96edf142730f1d)"
	.section	".note.GNU-stack","",@progbits
	.addrsig
	.addrsig_sym __hip_cuid_86b50f8844984355
	.amdgpu_metadata
---
amdhsa.kernels:
  - .args:
      - .actual_access:  read_only
        .address_space:  global
        .offset:         0
        .size:           8
        .value_kind:     global_buffer
      - .actual_access:  read_only
        .address_space:  global
        .offset:         8
        .size:           8
        .value_kind:     global_buffer
      - .actual_access:  read_only
        .address_space:  global
        .offset:         16
        .size:           8
        .value_kind:     global_buffer
      - .actual_access:  read_only
        .address_space:  global
        .offset:         24
        .size:           8
        .value_kind:     global_buffer
      - .actual_access:  read_only
        .address_space:  global
        .offset:         32
        .size:           8
        .value_kind:     global_buffer
      - .offset:         40
        .size:           8
        .value_kind:     by_value
      - .address_space:  global
        .offset:         48
        .size:           8
        .value_kind:     global_buffer
      - .address_space:  global
        .offset:         56
        .size:           8
        .value_kind:     global_buffer
      - .address_space:  global
        .offset:         64
        .size:           8
        .value_kind:     global_buffer
      - .address_space:  global
        .offset:         72
        .size:           8
        .value_kind:     global_buffer
      - .offset:         80
        .size:           4
        .value_kind:     by_value
      - .address_space:  global
        .offset:         88
        .size:           8
        .value_kind:     global_buffer
      - .address_space:  global
        .offset:         96
        .size:           8
        .value_kind:     global_buffer
    .group_segment_fixed_size: 10976
    .kernarg_segment_align: 8
    .kernarg_segment_size: 104
    .language:       OpenCL C
    .language_version:
      - 2
      - 0
    .max_flat_workgroup_size: 49
    .name:           bluestein_single_fwd_len686_dim1_dp_op_CI_CI
    .private_segment_fixed_size: 0
    .sgpr_count:     38
    .sgpr_spill_count: 0
    .symbol:         bluestein_single_fwd_len686_dim1_dp_op_CI_CI.kd
    .uniform_work_group_size: 1
    .uses_dynamic_stack: false
    .vgpr_count:     256
    .vgpr_spill_count: 0
    .wavefront_size: 64
amdhsa.target:   amdgcn-amd-amdhsa--gfx906
amdhsa.version:
  - 1
  - 2
...

	.end_amdgpu_metadata
